;; amdgpu-corpus repo=zjin-lcf/HeCBench kind=compiled arch=gfx906 opt=O3
	.amdgcn_target "amdgcn-amd-amdhsa--gfx906"
	.amdhsa_code_object_version 6
	.text
	.protected	_Z30softmax_forward_online_kernel3PfPKfii ; -- Begin function _Z30softmax_forward_online_kernel3PfPKfii
	.globl	_Z30softmax_forward_online_kernel3PfPKfii
	.p2align	8
	.type	_Z30softmax_forward_online_kernel3PfPKfii,@function
_Z30softmax_forward_online_kernel3PfPKfii: ; @_Z30softmax_forward_online_kernel3PfPKfii
; %bb.0:
	s_load_dwordx2 s[8:9], s[4:5], 0x10
	s_waitcnt lgkmcnt(0)
	s_cmp_ge_i32 s6, s8
	s_cbranch_scc1 .LBB0_20
; %bb.1:
	s_load_dwordx2 s[0:1], s[4:5], 0x8
	s_mul_i32 s2, s9, s6
	s_ashr_i32 s3, s2, 31
	s_lshl_b64 s[6:7], s[2:3], 2
	v_cmp_gt_i32_e32 vcc, s9, v0
	s_waitcnt lgkmcnt(0)
	s_add_u32 s8, s0, s6
	s_addc_u32 s16, s1, s7
	s_add_u32 s2, s4, 24
	v_cmp_le_i32_e64 s[0:1], s9, v0
	s_addc_u32 s3, s5, 0
                                        ; implicit-def: $sgpr13
                                        ; implicit-def: $sgpr12
	s_and_saveexec_b64 s[10:11], s[0:1]
	s_xor_b64 s[0:1], exec, s[10:11]
	s_cbranch_execz .LBB0_3
; %bb.2:
	s_load_dword s13, s[2:3], 0xc
	s_waitcnt lgkmcnt(0)
	s_and_b32 s12, s13, 0xffff
.LBB0_3:
	s_or_saveexec_b64 s[10:11], s[0:1]
	s_load_dwordx2 s[4:5], s[4:5], 0x0
	v_mov_b32_e32 v3, 0
	v_mov_b32_e32 v4, 0xff800000
	;; [unrolled: 1-line block ×4, first 2 shown]
	s_xor_b64 exec, exec, s[10:11]
	s_cbranch_execz .LBB0_7
; %bb.4:
	s_load_dword s14, s[2:3], 0xc
	v_mov_b32_e32 v3, 0
	v_mov_b32_e32 v4, 0xff800000
	s_mov_b64 s[12:13], 0
	v_mov_b32_e32 v5, s16
	s_waitcnt lgkmcnt(0)
	s_and_b32 s15, s14, 0xffff
	s_mov_b32 s17, 0x3fb8aa3b
	s_mov_b32 s18, 0xc2ce8ed0
	;; [unrolled: 1-line block ×3, first 2 shown]
	v_mov_b32_e32 v6, 0x7f800000
	v_mov_b32_e32 v1, v0
.LBB0_5:                                ; =>This Inner Loop Header: Depth=1
	v_ashrrev_i32_e32 v2, 31, v1
	v_lshlrev_b64 v[7:8], 2, v[1:2]
	v_add_u32_e32 v1, s15, v1
	v_add_co_u32_e64 v7, s[0:1], s8, v7
	v_addc_co_u32_e64 v8, s[0:1], v5, v8, s[0:1]
	global_load_dword v2, v[7:8], off
	v_cmp_le_i32_e64 s[0:1], s9, v1
	s_or_b64 s[12:13], s[0:1], s[12:13]
	s_waitcnt vmcnt(0)
	v_sub_f32_e32 v7, v4, v2
	v_mul_f32_e32 v8, 0x3fb8aa3b, v7
	v_fma_f32 v9, v7, s17, -v8
	v_rndne_f32_e32 v10, v8
	v_fmac_f32_e32 v9, 0x32a5705f, v7
	v_sub_f32_e32 v8, v8, v10
	v_add_f32_e32 v8, v8, v9
	v_cvt_i32_f32_e32 v10, v10
	v_exp_f32_e32 v8, v8
	v_cmp_ngt_f32_e64 s[2:3], s18, v7
	v_ldexp_f32 v8, v8, v10
	v_cndmask_b32_e64 v8, 0, v8, s[2:3]
	v_cmp_nlt_f32_e64 s[2:3], s19, v7
	v_cndmask_b32_e64 v7, v6, v8, s[2:3]
	v_cmp_gt_f32_e64 s[2:3], v2, v4
	v_cndmask_b32_e64 v4, v4, v2, s[2:3]
	v_mul_f32_e32 v7, v3, v7
	v_sub_f32_e32 v2, v2, v4
	v_cndmask_b32_e64 v3, v3, v7, s[2:3]
	v_mul_f32_e32 v7, 0x3fb8aa3b, v2
	v_fma_f32 v8, v2, s17, -v7
	v_rndne_f32_e32 v9, v7
	v_fmac_f32_e32 v8, 0x32a5705f, v2
	v_sub_f32_e32 v7, v7, v9
	v_add_f32_e32 v7, v7, v8
	v_cvt_i32_f32_e32 v9, v9
	v_exp_f32_e32 v7, v7
	v_cmp_ngt_f32_e64 s[0:1], s18, v2
	v_ldexp_f32 v7, v7, v9
	v_cndmask_b32_e64 v7, 0, v7, s[0:1]
	v_cmp_nlt_f32_e64 s[0:1], s19, v2
	v_cndmask_b32_e64 v2, v6, v7, s[0:1]
	v_add_f32_e32 v3, v3, v2
	s_andn2_b64 exec, exec, s[12:13]
	s_cbranch_execnz .LBB0_5
; %bb.6:
	s_or_b64 exec, exec, s[12:13]
	v_mov_b32_e32 v5, s14
	v_mov_b32_e32 v2, s15
.LBB0_7:
	s_or_b64 exec, exec, s[10:11]
	v_lshlrev_b32_e32 v1, 2, v0
	v_cmp_lt_u16_e64 s[0:1], 1, v5
	ds_write_b32 v1, v4
	s_waitcnt lgkmcnt(0)
	s_barrier
	s_and_saveexec_b64 s[10:11], s[0:1]
	s_cbranch_execz .LBB0_12
; %bb.8:
	s_mov_b64 s[12:13], 0
	v_mov_b32_e32 v5, v2
	s_branch .LBB0_10
.LBB0_9:                                ;   in Loop: Header=BB0_10 Depth=1
	s_or_b64 exec, exec, s[14:15]
	v_cmp_gt_u32_e64 s[2:3], 4, v5
	s_or_b64 s[12:13], s[2:3], s[12:13]
	v_mov_b32_e32 v5, v6
	s_waitcnt lgkmcnt(0)
	s_barrier
	s_andn2_b64 exec, exec, s[12:13]
	s_cbranch_execz .LBB0_12
.LBB0_10:                               ; =>This Inner Loop Header: Depth=1
	v_lshrrev_b32_e32 v6, 1, v5
	v_cmp_lt_u32_e64 s[2:3], v0, v6
	s_and_saveexec_b64 s[14:15], s[2:3]
	s_cbranch_execz .LBB0_9
; %bb.11:                               ;   in Loop: Header=BB0_10 Depth=1
	v_lshl_add_u32 v7, v6, 2, v1
	ds_read_b32 v7, v7
	ds_read_b32 v8, v1
	s_waitcnt lgkmcnt(1)
	v_max_f32_e32 v7, v7, v7
	s_waitcnt lgkmcnt(0)
	v_max_f32_e32 v8, v8, v8
	v_max_f32_e32 v7, v8, v7
	ds_write_b32 v1, v7
	s_branch .LBB0_9
.LBB0_12:
	s_or_b64 exec, exec, s[10:11]
	v_mov_b32_e32 v5, 0
	ds_read_b32 v5, v5
	s_mov_b32 s2, 0x3fb8aa3b
	s_waitcnt lgkmcnt(0)
	s_barrier
	v_sub_f32_e32 v4, v4, v5
	v_mul_f32_e32 v6, 0x3fb8aa3b, v4
	v_fma_f32 v7, v4, s2, -v6
	v_rndne_f32_e32 v8, v6
	v_fmac_f32_e32 v7, 0x32a5705f, v4
	v_sub_f32_e32 v6, v6, v8
	v_add_f32_e32 v6, v6, v7
	v_cvt_i32_f32_e32 v8, v8
	v_exp_f32_e32 v6, v6
	s_mov_b32 s2, 0xc2ce8ed0
	v_cmp_ngt_f32_e64 s[2:3], s2, v4
	v_mov_b32_e32 v7, 0x7f800000
	v_ldexp_f32 v6, v6, v8
	v_cndmask_b32_e64 v6, 0, v6, s[2:3]
	s_mov_b32 s2, 0x42b17218
	v_cmp_nlt_f32_e64 s[2:3], s2, v4
	v_cndmask_b32_e64 v4, v7, v6, s[2:3]
	v_mul_f32_e32 v3, v3, v4
	ds_write_b32 v1, v3
	s_waitcnt lgkmcnt(0)
	s_barrier
	s_and_saveexec_b64 s[2:3], s[0:1]
	s_cbranch_execz .LBB0_17
; %bb.13:
	s_mov_b64 s[10:11], 0
	v_mov_b32_e32 v3, v2
	s_branch .LBB0_15
.LBB0_14:                               ;   in Loop: Header=BB0_15 Depth=1
	s_or_b64 exec, exec, s[12:13]
	v_cmp_gt_u32_e64 s[0:1], 4, v3
	s_or_b64 s[10:11], s[0:1], s[10:11]
	v_mov_b32_e32 v3, v4
	s_waitcnt lgkmcnt(0)
	s_barrier
	s_andn2_b64 exec, exec, s[10:11]
	s_cbranch_execz .LBB0_17
.LBB0_15:                               ; =>This Inner Loop Header: Depth=1
	v_lshrrev_b32_e32 v4, 1, v3
	v_cmp_lt_u32_e64 s[0:1], v0, v4
	s_and_saveexec_b64 s[12:13], s[0:1]
	s_cbranch_execz .LBB0_14
; %bb.16:                               ;   in Loop: Header=BB0_15 Depth=1
	v_lshl_add_u32 v6, v4, 2, v1
	ds_read_b32 v6, v6
	ds_read_b32 v7, v1
	s_waitcnt lgkmcnt(0)
	v_add_f32_e32 v6, v6, v7
	ds_write_b32 v1, v6
	s_branch .LBB0_14
.LBB0_17:
	s_or_b64 exec, exec, s[2:3]
	v_mov_b32_e32 v1, 0
	ds_read_b32 v3, v1
	s_waitcnt lgkmcnt(0)
	s_barrier
	s_and_saveexec_b64 s[0:1], vcc
	s_cbranch_execz .LBB0_20
; %bb.18:
	s_add_u32 s4, s4, s6
	s_addc_u32 s0, s5, s7
	s_mov_b64 s[2:3], 0
	v_mov_b32_e32 v4, s16
	s_mov_b32 s5, 0x3fb8aa3b
	s_mov_b32 s6, 0xc2ce8ed0
	;; [unrolled: 1-line block ×3, first 2 shown]
	v_mov_b32_e32 v6, 0x7f800000
	v_mov_b32_e32 v7, s0
.LBB0_19:                               ; =>This Inner Loop Header: Depth=1
	v_ashrrev_i32_e32 v1, 31, v0
	v_lshlrev_b64 v[8:9], 2, v[0:1]
	v_add_u32_e32 v0, v0, v2
	v_add_co_u32_e32 v10, vcc, s8, v8
	v_addc_co_u32_e32 v11, vcc, v4, v9, vcc
	global_load_dword v1, v[10:11], off
	s_waitcnt vmcnt(0)
	v_sub_f32_e32 v1, v1, v5
	v_mul_f32_e32 v10, 0x3fb8aa3b, v1
	v_fma_f32 v11, v1, s5, -v10
	v_rndne_f32_e32 v12, v10
	v_fmac_f32_e32 v11, 0x32a5705f, v1
	v_sub_f32_e32 v10, v10, v12
	v_add_f32_e32 v10, v10, v11
	v_cvt_i32_f32_e32 v12, v12
	v_exp_f32_e32 v10, v10
	v_cmp_ngt_f32_e32 vcc, s6, v1
	v_ldexp_f32 v10, v10, v12
	v_cndmask_b32_e32 v10, 0, v10, vcc
	v_cmp_nlt_f32_e32 vcc, s7, v1
	v_cndmask_b32_e32 v1, v6, v10, vcc
	v_div_scale_f32 v10, s[0:1], v3, v3, v1
	v_div_scale_f32 v11, vcc, v1, v3, v1
	v_add_co_u32_e64 v8, s[0:1], s4, v8
	v_addc_co_u32_e64 v9, s[0:1], v7, v9, s[0:1]
	v_rcp_f32_e32 v12, v10
	v_fma_f32 v13, -v10, v12, 1.0
	v_fmac_f32_e32 v12, v13, v12
	v_mul_f32_e32 v13, v11, v12
	v_fma_f32 v14, -v10, v13, v11
	v_fmac_f32_e32 v13, v14, v12
	v_fma_f32 v10, -v10, v13, v11
	v_div_fmas_f32 v10, v10, v12, v13
	v_cmp_le_i32_e32 vcc, s9, v0
	s_or_b64 s[2:3], vcc, s[2:3]
	v_div_fixup_f32 v1, v10, v3, v1
	global_store_dword v[8:9], v1, off
	s_andn2_b64 exec, exec, s[2:3]
	s_cbranch_execnz .LBB0_19
.LBB0_20:
	s_endpgm
	.section	.rodata,"a",@progbits
	.p2align	6, 0x0
	.amdhsa_kernel _Z30softmax_forward_online_kernel3PfPKfii
		.amdhsa_group_segment_fixed_size 4096
		.amdhsa_private_segment_fixed_size 0
		.amdhsa_kernarg_size 280
		.amdhsa_user_sgpr_count 6
		.amdhsa_user_sgpr_private_segment_buffer 1
		.amdhsa_user_sgpr_dispatch_ptr 0
		.amdhsa_user_sgpr_queue_ptr 0
		.amdhsa_user_sgpr_kernarg_segment_ptr 1
		.amdhsa_user_sgpr_dispatch_id 0
		.amdhsa_user_sgpr_flat_scratch_init 0
		.amdhsa_user_sgpr_private_segment_size 0
		.amdhsa_uses_dynamic_stack 0
		.amdhsa_system_sgpr_private_segment_wavefront_offset 0
		.amdhsa_system_sgpr_workgroup_id_x 1
		.amdhsa_system_sgpr_workgroup_id_y 0
		.amdhsa_system_sgpr_workgroup_id_z 0
		.amdhsa_system_sgpr_workgroup_info 0
		.amdhsa_system_vgpr_workitem_id 0
		.amdhsa_next_free_vgpr 29
		.amdhsa_next_free_sgpr 61
		.amdhsa_reserve_vcc 1
		.amdhsa_reserve_flat_scratch 0
		.amdhsa_float_round_mode_32 0
		.amdhsa_float_round_mode_16_64 0
		.amdhsa_float_denorm_mode_32 3
		.amdhsa_float_denorm_mode_16_64 3
		.amdhsa_dx10_clamp 1
		.amdhsa_ieee_mode 1
		.amdhsa_fp16_overflow 0
		.amdhsa_exception_fp_ieee_invalid_op 0
		.amdhsa_exception_fp_denorm_src 0
		.amdhsa_exception_fp_ieee_div_zero 0
		.amdhsa_exception_fp_ieee_overflow 0
		.amdhsa_exception_fp_ieee_underflow 0
		.amdhsa_exception_fp_ieee_inexact 0
		.amdhsa_exception_int_div_zero 0
	.end_amdhsa_kernel
	.text
.Lfunc_end0:
	.size	_Z30softmax_forward_online_kernel3PfPKfii, .Lfunc_end0-_Z30softmax_forward_online_kernel3PfPKfii
                                        ; -- End function
	.set _Z30softmax_forward_online_kernel3PfPKfii.num_vgpr, 15
	.set _Z30softmax_forward_online_kernel3PfPKfii.num_agpr, 0
	.set _Z30softmax_forward_online_kernel3PfPKfii.numbered_sgpr, 20
	.set _Z30softmax_forward_online_kernel3PfPKfii.num_named_barrier, 0
	.set _Z30softmax_forward_online_kernel3PfPKfii.private_seg_size, 0
	.set _Z30softmax_forward_online_kernel3PfPKfii.uses_vcc, 1
	.set _Z30softmax_forward_online_kernel3PfPKfii.uses_flat_scratch, 0
	.set _Z30softmax_forward_online_kernel3PfPKfii.has_dyn_sized_stack, 0
	.set _Z30softmax_forward_online_kernel3PfPKfii.has_recursion, 0
	.set _Z30softmax_forward_online_kernel3PfPKfii.has_indirect_call, 0
	.section	.AMDGPU.csdata,"",@progbits
; Kernel info:
; codeLenInByte = 1260
; TotalNumSgprs: 24
; NumVgprs: 15
; ScratchSize: 0
; MemoryBound: 0
; FloatMode: 240
; IeeeMode: 1
; LDSByteSize: 4096 bytes/workgroup (compile time only)
; SGPRBlocks: 8
; VGPRBlocks: 7
; NumSGPRsForWavesPerEU: 65
; NumVGPRsForWavesPerEU: 29
; Occupancy: 8
; WaveLimiterHint : 0
; COMPUTE_PGM_RSRC2:SCRATCH_EN: 0
; COMPUTE_PGM_RSRC2:USER_SGPR: 6
; COMPUTE_PGM_RSRC2:TRAP_HANDLER: 0
; COMPUTE_PGM_RSRC2:TGID_X_EN: 1
; COMPUTE_PGM_RSRC2:TGID_Y_EN: 0
; COMPUTE_PGM_RSRC2:TGID_Z_EN: 0
; COMPUTE_PGM_RSRC2:TIDIG_COMP_CNT: 0
	.section	.text._Z31softmax_forward_baseline_kernelILj64EEvPfPKfii,"axG",@progbits,_Z31softmax_forward_baseline_kernelILj64EEvPfPKfii,comdat
	.protected	_Z31softmax_forward_baseline_kernelILj64EEvPfPKfii ; -- Begin function _Z31softmax_forward_baseline_kernelILj64EEvPfPKfii
	.globl	_Z31softmax_forward_baseline_kernelILj64EEvPfPKfii
	.p2align	8
	.type	_Z31softmax_forward_baseline_kernelILj64EEvPfPKfii,@function
_Z31softmax_forward_baseline_kernelILj64EEvPfPKfii: ; @_Z31softmax_forward_baseline_kernelILj64EEvPfPKfii
; %bb.0:
	s_load_dwordx2 s[2:3], s[4:5], 0x10
	s_waitcnt lgkmcnt(0)
	v_cmp_gt_i32_e32 vcc, s3, v0
	s_and_saveexec_b64 s[0:1], vcc
	s_cbranch_execz .LBB1_13
; %bb.1:
	s_load_dword s0, s[4:5], 0x24
	v_lshrrev_b32_e32 v1, 6, v0
	s_waitcnt lgkmcnt(0)
	s_bfe_u32 s0, s0, 0xa0006
	s_mul_i32 s6, s6, s0
	v_add_u32_e32 v1, s6, v1
	v_cmp_gt_i32_e32 vcc, s2, v1
	s_and_b64 exec, exec, vcc
	s_cbranch_execz .LBB1_13
; %bb.2:
	v_mul_lo_u32 v1, v1, s3
	s_load_dwordx4 s[4:7], s[4:5], 0x0
	v_and_b32_e32 v5, 63, v0
	v_cmp_gt_u32_e64 s[0:1], s3, v5
	v_ashrrev_i32_e32 v2, 31, v1
	v_lshlrev_b64 v[1:2], 2, v[1:2]
	v_mov_b32_e32 v6, 0xff800000
	s_and_saveexec_b64 s[8:9], s[0:1]
	s_cbranch_execz .LBB1_6
; %bb.3:
	v_and_b32_e32 v3, 63, v0
	v_lshlrev_b32_e32 v3, 2, v3
	v_add_co_u32_e32 v3, vcc, v1, v3
	v_addc_co_u32_e32 v4, vcc, 0, v2, vcc
	s_waitcnt lgkmcnt(0)
	v_mov_b32_e32 v6, s7
	v_add_co_u32_e32 v3, vcc, s6, v3
	v_addc_co_u32_e32 v4, vcc, v6, v4, vcc
	v_mov_b32_e32 v6, 0xff800000
	s_mov_b64 s[10:11], 0
	v_mov_b32_e32 v7, v5
.LBB1_4:                                ; =>This Inner Loop Header: Depth=1
	global_load_dword v8, v[3:4], off
	v_add_co_u32_e32 v3, vcc, 0x100, v3
	v_add_u32_e32 v7, 64, v7
	v_addc_co_u32_e32 v4, vcc, 0, v4, vcc
	v_max_f32_e32 v6, v6, v6
	v_cmp_le_i32_e32 vcc, s3, v7
	s_or_b64 s[10:11], vcc, s[10:11]
	s_waitcnt vmcnt(0)
	v_max_f32_e32 v8, v8, v8
	v_max_f32_e32 v6, v8, v6
	s_andn2_b64 exec, exec, s[10:11]
	s_cbranch_execnz .LBB1_4
; %bb.5:
	s_or_b64 exec, exec, s[10:11]
.LBB1_6:
	s_or_b64 exec, exec, s[8:9]
	v_mov_b32_dpp v3, v6 quad_perm:[1,0,3,2] row_mask:0xf bank_mask:0xf bound_ctrl:1
	v_cmp_gt_f32_e32 vcc, v6, v3
	v_cndmask_b32_e32 v3, v3, v6, vcc
	v_mov_b32_e32 v9, 0
	s_nop 0
	v_mov_b32_dpp v4, v3 quad_perm:[2,3,0,1] row_mask:0xf bank_mask:0xf bound_ctrl:1
	v_cmp_gt_f32_e32 vcc, v3, v4
	v_cndmask_b32_e32 v3, v4, v3, vcc
	s_nop 1
	v_mov_b32_dpp v4, v3 row_ror:4 row_mask:0xf bank_mask:0xf bound_ctrl:1
	v_cmp_gt_f32_e32 vcc, v3, v4
	v_cndmask_b32_e32 v3, v4, v3, vcc
	s_nop 1
	v_mov_b32_dpp v4, v3 row_ror:8 row_mask:0xf bank_mask:0xf bound_ctrl:1
	v_cmp_gt_f32_e32 vcc, v3, v4
	v_cndmask_b32_e32 v3, v4, v3, vcc
	s_nop 1
	v_mov_b32_dpp v4, v3 row_bcast:15 row_mask:0xf bank_mask:0xf bound_ctrl:1
	v_cmp_gt_f32_e32 vcc, v3, v4
	v_cndmask_b32_e32 v3, v4, v3, vcc
	s_nop 1
	v_mov_b32_dpp v4, v3 row_bcast:31 row_mask:0xf bank_mask:0xf bound_ctrl:1
	v_cmp_gt_f32_e32 vcc, v3, v4
	v_cndmask_b32_e32 v3, v4, v3, vcc
	v_mbcnt_lo_u32_b32 v4, -1, 0
	v_mbcnt_hi_u32_b32 v4, -1, v4
	v_lshlrev_b32_e32 v4, 2, v4
	v_or_b32_e32 v7, 0xfc, v4
	ds_bpermute_b32 v3, v7, v3
	v_and_b32_e32 v8, 0x100, v4
	s_waitcnt lgkmcnt(0)
	ds_bpermute_b32 v6, v8, v3
	s_and_saveexec_b64 s[8:9], s[0:1]
	s_cbranch_execz .LBB1_10
; %bb.7:
	v_and_b32_e32 v3, 63, v0
	v_lshlrev_b32_e32 v3, 2, v3
	v_add_co_u32_e32 v3, vcc, v1, v3
	v_addc_co_u32_e32 v4, vcc, 0, v2, vcc
	v_mov_b32_e32 v10, s7
	v_add_co_u32_e32 v3, vcc, s6, v3
	v_mov_b32_e32 v9, 0
	v_addc_co_u32_e32 v4, vcc, v10, v4, vcc
	s_mov_b64 s[10:11], 0
	s_mov_b32 s2, 0x3fb8aa3b
	s_mov_b32 s12, 0xc2ce8ed0
	;; [unrolled: 1-line block ×3, first 2 shown]
	v_mov_b32_e32 v10, 0x7f800000
	v_mov_b32_e32 v11, v5
.LBB1_8:                                ; =>This Inner Loop Header: Depth=1
	global_load_dword v12, v[3:4], off
	v_add_co_u32_e32 v3, vcc, 0x100, v3
	v_add_u32_e32 v11, 64, v11
	v_addc_co_u32_e32 v4, vcc, 0, v4, vcc
	v_cmp_le_i32_e32 vcc, s3, v11
	s_or_b64 s[10:11], vcc, s[10:11]
	s_waitcnt vmcnt(0) lgkmcnt(0)
	v_sub_f32_e32 v12, v12, v6
	v_mul_f32_e32 v13, 0x3fb8aa3b, v12
	v_fma_f32 v14, v12, s2, -v13
	v_rndne_f32_e32 v15, v13
	v_fmac_f32_e32 v14, 0x32a5705f, v12
	v_sub_f32_e32 v13, v13, v15
	v_add_f32_e32 v13, v13, v14
	v_cvt_i32_f32_e32 v15, v15
	v_exp_f32_e32 v13, v13
	v_cmp_ngt_f32_e32 vcc, s12, v12
	v_ldexp_f32 v13, v13, v15
	v_cndmask_b32_e32 v13, 0, v13, vcc
	v_cmp_nlt_f32_e32 vcc, s13, v12
	v_cndmask_b32_e32 v12, v10, v13, vcc
	v_add_f32_e32 v9, v9, v12
	s_andn2_b64 exec, exec, s[10:11]
	s_cbranch_execnz .LBB1_8
; %bb.9:
	s_or_b64 exec, exec, s[10:11]
.LBB1_10:
	s_or_b64 exec, exec, s[8:9]
	v_add_f32_dpp v3, v9, v9 quad_perm:[1,0,3,2] row_mask:0xf bank_mask:0xf bound_ctrl:1
	s_nop 1
	v_add_f32_dpp v3, v3, v3 quad_perm:[2,3,0,1] row_mask:0xf bank_mask:0xf bound_ctrl:1
	s_nop 1
	v_add_f32_dpp v3, v3, v3 row_ror:4 row_mask:0xf bank_mask:0xf bound_ctrl:1
	s_nop 1
	v_add_f32_dpp v3, v3, v3 row_ror:8 row_mask:0xf bank_mask:0xf bound_ctrl:1
	s_nop 1
	v_add_f32_dpp v3, v3, v3 row_bcast:15 row_mask:0xf bank_mask:0xf bound_ctrl:1
	s_nop 1
	v_add_f32_dpp v3, v3, v3 row_bcast:31 row_mask:0xf bank_mask:0xf bound_ctrl:1
	ds_bpermute_b32 v3, v7, v3
	s_waitcnt lgkmcnt(0)
	ds_bpermute_b32 v4, v8, v3
	s_and_b64 exec, exec, s[0:1]
	s_cbranch_execz .LBB1_13
; %bb.11:
	v_and_b32_e32 v0, 63, v0
	v_lshlrev_b32_e32 v0, 2, v0
	v_add_co_u32_e32 v3, vcc, v1, v0
	v_addc_co_u32_e32 v7, vcc, 0, v2, vcc
	v_mov_b32_e32 v1, s5
	v_add_co_u32_e32 v0, vcc, s4, v3
	v_addc_co_u32_e32 v1, vcc, v1, v7, vcc
	v_mov_b32_e32 v8, s7
	v_add_co_u32_e32 v2, vcc, s6, v3
	v_addc_co_u32_e32 v3, vcc, v8, v7, vcc
	s_mov_b64 s[0:1], 0
	s_mov_b32 s2, 0x3fb8aa3b
	s_mov_b32 s4, 0xc2ce8ed0
	;; [unrolled: 1-line block ×3, first 2 shown]
	v_mov_b32_e32 v7, 0x7f800000
.LBB1_12:                               ; =>This Inner Loop Header: Depth=1
	global_load_dword v8, v[2:3], off
	v_add_u32_e32 v5, 64, v5
	s_waitcnt vmcnt(0)
	v_sub_f32_e32 v8, v8, v6
	v_mul_f32_e32 v9, 0x3fb8aa3b, v8
	v_fma_f32 v10, v8, s2, -v9
	v_rndne_f32_e32 v11, v9
	v_fmac_f32_e32 v10, 0x32a5705f, v8
	v_sub_f32_e32 v9, v9, v11
	v_add_f32_e32 v9, v9, v10
	v_cvt_i32_f32_e32 v11, v11
	v_exp_f32_e32 v9, v9
	v_cmp_ngt_f32_e32 vcc, s4, v8
	v_ldexp_f32 v9, v9, v11
	v_cndmask_b32_e32 v9, 0, v9, vcc
	v_cmp_nlt_f32_e32 vcc, s5, v8
	v_cndmask_b32_e32 v8, v7, v9, vcc
	s_waitcnt lgkmcnt(0)
	v_div_scale_f32 v9, s[6:7], v4, v4, v8
	v_div_scale_f32 v10, vcc, v8, v4, v8
	v_rcp_f32_e32 v11, v9
	v_fma_f32 v12, -v9, v11, 1.0
	v_fmac_f32_e32 v11, v12, v11
	v_mul_f32_e32 v12, v10, v11
	v_fma_f32 v13, -v9, v12, v10
	v_fmac_f32_e32 v12, v13, v11
	v_fma_f32 v9, -v9, v12, v10
	v_div_fmas_f32 v9, v9, v11, v12
	v_cmp_le_i32_e32 vcc, s3, v5
	s_or_b64 s[0:1], vcc, s[0:1]
	v_div_fixup_f32 v8, v9, v4, v8
	global_store_dword v[0:1], v8, off
	v_add_co_u32_e32 v0, vcc, 0x100, v0
	v_addc_co_u32_e32 v1, vcc, 0, v1, vcc
	v_add_co_u32_e32 v2, vcc, 0x100, v2
	v_addc_co_u32_e32 v3, vcc, 0, v3, vcc
	s_andn2_b64 exec, exec, s[0:1]
	s_cbranch_execnz .LBB1_12
.LBB1_13:
	s_endpgm
	.section	.rodata,"a",@progbits
	.p2align	6, 0x0
	.amdhsa_kernel _Z31softmax_forward_baseline_kernelILj64EEvPfPKfii
		.amdhsa_group_segment_fixed_size 0
		.amdhsa_private_segment_fixed_size 0
		.amdhsa_kernarg_size 280
		.amdhsa_user_sgpr_count 6
		.amdhsa_user_sgpr_private_segment_buffer 1
		.amdhsa_user_sgpr_dispatch_ptr 0
		.amdhsa_user_sgpr_queue_ptr 0
		.amdhsa_user_sgpr_kernarg_segment_ptr 1
		.amdhsa_user_sgpr_dispatch_id 0
		.amdhsa_user_sgpr_flat_scratch_init 0
		.amdhsa_user_sgpr_private_segment_size 0
		.amdhsa_uses_dynamic_stack 0
		.amdhsa_system_sgpr_private_segment_wavefront_offset 0
		.amdhsa_system_sgpr_workgroup_id_x 1
		.amdhsa_system_sgpr_workgroup_id_y 0
		.amdhsa_system_sgpr_workgroup_id_z 0
		.amdhsa_system_sgpr_workgroup_info 0
		.amdhsa_system_vgpr_workitem_id 0
		.amdhsa_next_free_vgpr 16
		.amdhsa_next_free_sgpr 14
		.amdhsa_reserve_vcc 1
		.amdhsa_reserve_flat_scratch 0
		.amdhsa_float_round_mode_32 0
		.amdhsa_float_round_mode_16_64 0
		.amdhsa_float_denorm_mode_32 3
		.amdhsa_float_denorm_mode_16_64 3
		.amdhsa_dx10_clamp 1
		.amdhsa_ieee_mode 1
		.amdhsa_fp16_overflow 0
		.amdhsa_exception_fp_ieee_invalid_op 0
		.amdhsa_exception_fp_denorm_src 0
		.amdhsa_exception_fp_ieee_div_zero 0
		.amdhsa_exception_fp_ieee_overflow 0
		.amdhsa_exception_fp_ieee_underflow 0
		.amdhsa_exception_fp_ieee_inexact 0
		.amdhsa_exception_int_div_zero 0
	.end_amdhsa_kernel
	.section	.text._Z31softmax_forward_baseline_kernelILj64EEvPfPKfii,"axG",@progbits,_Z31softmax_forward_baseline_kernelILj64EEvPfPKfii,comdat
.Lfunc_end1:
	.size	_Z31softmax_forward_baseline_kernelILj64EEvPfPKfii, .Lfunc_end1-_Z31softmax_forward_baseline_kernelILj64EEvPfPKfii
                                        ; -- End function
	.set _Z31softmax_forward_baseline_kernelILj64EEvPfPKfii.num_vgpr, 16
	.set _Z31softmax_forward_baseline_kernelILj64EEvPfPKfii.num_agpr, 0
	.set _Z31softmax_forward_baseline_kernelILj64EEvPfPKfii.numbered_sgpr, 14
	.set _Z31softmax_forward_baseline_kernelILj64EEvPfPKfii.num_named_barrier, 0
	.set _Z31softmax_forward_baseline_kernelILj64EEvPfPKfii.private_seg_size, 0
	.set _Z31softmax_forward_baseline_kernelILj64EEvPfPKfii.uses_vcc, 1
	.set _Z31softmax_forward_baseline_kernelILj64EEvPfPKfii.uses_flat_scratch, 0
	.set _Z31softmax_forward_baseline_kernelILj64EEvPfPKfii.has_dyn_sized_stack, 0
	.set _Z31softmax_forward_baseline_kernelILj64EEvPfPKfii.has_recursion, 0
	.set _Z31softmax_forward_baseline_kernelILj64EEvPfPKfii.has_indirect_call, 0
	.section	.AMDGPU.csdata,"",@progbits
; Kernel info:
; codeLenInByte = 1008
; TotalNumSgprs: 18
; NumVgprs: 16
; ScratchSize: 0
; MemoryBound: 0
; FloatMode: 240
; IeeeMode: 1
; LDSByteSize: 0 bytes/workgroup (compile time only)
; SGPRBlocks: 2
; VGPRBlocks: 3
; NumSGPRsForWavesPerEU: 18
; NumVGPRsForWavesPerEU: 16
; Occupancy: 10
; WaveLimiterHint : 0
; COMPUTE_PGM_RSRC2:SCRATCH_EN: 0
; COMPUTE_PGM_RSRC2:USER_SGPR: 6
; COMPUTE_PGM_RSRC2:TRAP_HANDLER: 0
; COMPUTE_PGM_RSRC2:TGID_X_EN: 1
; COMPUTE_PGM_RSRC2:TGID_Y_EN: 0
; COMPUTE_PGM_RSRC2:TGID_Z_EN: 0
; COMPUTE_PGM_RSRC2:TIDIG_COMP_CNT: 0
	.section	.text._Z31softmax_forward_baseline_kernelILj32EEvPfPKfii,"axG",@progbits,_Z31softmax_forward_baseline_kernelILj32EEvPfPKfii,comdat
	.protected	_Z31softmax_forward_baseline_kernelILj32EEvPfPKfii ; -- Begin function _Z31softmax_forward_baseline_kernelILj32EEvPfPKfii
	.globl	_Z31softmax_forward_baseline_kernelILj32EEvPfPKfii
	.p2align	8
	.type	_Z31softmax_forward_baseline_kernelILj32EEvPfPKfii,@function
_Z31softmax_forward_baseline_kernelILj32EEvPfPKfii: ; @_Z31softmax_forward_baseline_kernelILj32EEvPfPKfii
; %bb.0:
	s_load_dwordx2 s[2:3], s[4:5], 0x10
	s_waitcnt lgkmcnt(0)
	v_cmp_gt_i32_e32 vcc, s3, v0
	s_and_saveexec_b64 s[0:1], vcc
	s_cbranch_execz .LBB2_13
; %bb.1:
	s_load_dword s0, s[4:5], 0x24
	v_lshrrev_b32_e32 v1, 5, v0
	s_waitcnt lgkmcnt(0)
	s_bfe_u32 s0, s0, 0xb0005
	s_mul_i32 s6, s6, s0
	v_add_u32_e32 v1, s6, v1
	v_cmp_gt_i32_e32 vcc, s2, v1
	s_and_b64 exec, exec, vcc
	s_cbranch_execz .LBB2_13
; %bb.2:
	v_mul_lo_u32 v1, v1, s3
	s_load_dwordx4 s[4:7], s[4:5], 0x0
	v_and_b32_e32 v5, 31, v0
	v_cmp_gt_u32_e64 s[0:1], s3, v5
	v_ashrrev_i32_e32 v2, 31, v1
	v_lshlrev_b64 v[1:2], 2, v[1:2]
	v_mov_b32_e32 v6, 0xff800000
	s_and_saveexec_b64 s[8:9], s[0:1]
	s_cbranch_execz .LBB2_6
; %bb.3:
	v_and_b32_e32 v3, 31, v0
	v_lshlrev_b32_e32 v3, 2, v3
	v_add_co_u32_e32 v3, vcc, v1, v3
	v_addc_co_u32_e32 v4, vcc, 0, v2, vcc
	s_waitcnt lgkmcnt(0)
	v_mov_b32_e32 v6, s7
	v_add_co_u32_e32 v3, vcc, s6, v3
	v_addc_co_u32_e32 v4, vcc, v6, v4, vcc
	v_mov_b32_e32 v6, 0xff800000
	s_mov_b64 s[10:11], 0
	v_mov_b32_e32 v7, v5
.LBB2_4:                                ; =>This Inner Loop Header: Depth=1
	global_load_dword v8, v[3:4], off
	v_add_co_u32_e32 v3, vcc, 0x80, v3
	v_add_u32_e32 v7, 32, v7
	v_addc_co_u32_e32 v4, vcc, 0, v4, vcc
	v_max_f32_e32 v6, v6, v6
	v_cmp_le_i32_e32 vcc, s3, v7
	s_or_b64 s[10:11], vcc, s[10:11]
	s_waitcnt vmcnt(0)
	v_max_f32_e32 v8, v8, v8
	v_max_f32_e32 v6, v8, v6
	s_andn2_b64 exec, exec, s[10:11]
	s_cbranch_execnz .LBB2_4
; %bb.5:
	s_or_b64 exec, exec, s[10:11]
.LBB2_6:
	s_or_b64 exec, exec, s[8:9]
	v_mov_b32_dpp v3, v6 quad_perm:[1,0,3,2] row_mask:0xf bank_mask:0xf bound_ctrl:1
	v_cmp_gt_f32_e32 vcc, v6, v3
	v_cndmask_b32_e32 v3, v3, v6, vcc
	v_mov_b32_e32 v9, 0
	s_nop 0
	v_mov_b32_dpp v4, v3 quad_perm:[2,3,0,1] row_mask:0xf bank_mask:0xf bound_ctrl:1
	v_cmp_gt_f32_e32 vcc, v3, v4
	v_cndmask_b32_e32 v3, v4, v3, vcc
	s_nop 1
	v_mov_b32_dpp v4, v3 row_ror:4 row_mask:0xf bank_mask:0xf bound_ctrl:1
	v_cmp_gt_f32_e32 vcc, v3, v4
	v_cndmask_b32_e32 v3, v4, v3, vcc
	s_nop 1
	v_mov_b32_dpp v4, v3 row_ror:8 row_mask:0xf bank_mask:0xf bound_ctrl:1
	v_cmp_gt_f32_e32 vcc, v3, v4
	v_cndmask_b32_e32 v3, v4, v3, vcc
	s_nop 1
	v_mov_b32_dpp v4, v3 row_bcast:15 row_mask:0xf bank_mask:0xf bound_ctrl:1
	v_cmp_gt_f32_e32 vcc, v3, v4
	v_cndmask_b32_e32 v3, v4, v3, vcc
	s_nop 1
	v_mov_b32_dpp v4, v3 row_bcast:31 row_mask:0xf bank_mask:0xf bound_ctrl:1
	v_cmp_gt_f32_e32 vcc, v3, v4
	v_cndmask_b32_e32 v3, v4, v3, vcc
	v_mbcnt_lo_u32_b32 v4, -1, 0
	v_mbcnt_hi_u32_b32 v4, -1, v4
	v_lshlrev_b32_e32 v4, 2, v4
	v_or_b32_e32 v7, 0xfc, v4
	ds_bpermute_b32 v3, v7, v3
	v_and_b32_e32 v8, 0x100, v4
	s_waitcnt lgkmcnt(0)
	ds_bpermute_b32 v6, v8, v3
	s_and_saveexec_b64 s[8:9], s[0:1]
	s_cbranch_execz .LBB2_10
; %bb.7:
	v_and_b32_e32 v3, 31, v0
	v_lshlrev_b32_e32 v3, 2, v3
	v_add_co_u32_e32 v3, vcc, v1, v3
	v_addc_co_u32_e32 v4, vcc, 0, v2, vcc
	v_mov_b32_e32 v10, s7
	v_add_co_u32_e32 v3, vcc, s6, v3
	v_mov_b32_e32 v9, 0
	v_addc_co_u32_e32 v4, vcc, v10, v4, vcc
	s_mov_b64 s[10:11], 0
	s_mov_b32 s2, 0x3fb8aa3b
	s_mov_b32 s12, 0xc2ce8ed0
	;; [unrolled: 1-line block ×3, first 2 shown]
	v_mov_b32_e32 v10, 0x7f800000
	v_mov_b32_e32 v11, v5
.LBB2_8:                                ; =>This Inner Loop Header: Depth=1
	global_load_dword v12, v[3:4], off
	v_add_co_u32_e32 v3, vcc, 0x80, v3
	v_add_u32_e32 v11, 32, v11
	v_addc_co_u32_e32 v4, vcc, 0, v4, vcc
	v_cmp_le_i32_e32 vcc, s3, v11
	s_or_b64 s[10:11], vcc, s[10:11]
	s_waitcnt vmcnt(0) lgkmcnt(0)
	v_sub_f32_e32 v12, v12, v6
	v_mul_f32_e32 v13, 0x3fb8aa3b, v12
	v_fma_f32 v14, v12, s2, -v13
	v_rndne_f32_e32 v15, v13
	v_fmac_f32_e32 v14, 0x32a5705f, v12
	v_sub_f32_e32 v13, v13, v15
	v_add_f32_e32 v13, v13, v14
	v_cvt_i32_f32_e32 v15, v15
	v_exp_f32_e32 v13, v13
	v_cmp_ngt_f32_e32 vcc, s12, v12
	v_ldexp_f32 v13, v13, v15
	v_cndmask_b32_e32 v13, 0, v13, vcc
	v_cmp_nlt_f32_e32 vcc, s13, v12
	v_cndmask_b32_e32 v12, v10, v13, vcc
	v_add_f32_e32 v9, v9, v12
	s_andn2_b64 exec, exec, s[10:11]
	s_cbranch_execnz .LBB2_8
; %bb.9:
	s_or_b64 exec, exec, s[10:11]
.LBB2_10:
	s_or_b64 exec, exec, s[8:9]
	v_add_f32_dpp v3, v9, v9 quad_perm:[1,0,3,2] row_mask:0xf bank_mask:0xf bound_ctrl:1
	s_nop 1
	v_add_f32_dpp v3, v3, v3 quad_perm:[2,3,0,1] row_mask:0xf bank_mask:0xf bound_ctrl:1
	s_nop 1
	v_add_f32_dpp v3, v3, v3 row_ror:4 row_mask:0xf bank_mask:0xf bound_ctrl:1
	s_nop 1
	v_add_f32_dpp v3, v3, v3 row_ror:8 row_mask:0xf bank_mask:0xf bound_ctrl:1
	s_nop 1
	v_add_f32_dpp v3, v3, v3 row_bcast:15 row_mask:0xf bank_mask:0xf bound_ctrl:1
	s_nop 1
	v_add_f32_dpp v3, v3, v3 row_bcast:31 row_mask:0xf bank_mask:0xf bound_ctrl:1
	ds_bpermute_b32 v3, v7, v3
	s_waitcnt lgkmcnt(0)
	ds_bpermute_b32 v4, v8, v3
	s_and_b64 exec, exec, s[0:1]
	s_cbranch_execz .LBB2_13
; %bb.11:
	v_and_b32_e32 v0, 31, v0
	v_lshlrev_b32_e32 v0, 2, v0
	v_add_co_u32_e32 v3, vcc, v1, v0
	v_addc_co_u32_e32 v7, vcc, 0, v2, vcc
	v_mov_b32_e32 v1, s5
	v_add_co_u32_e32 v0, vcc, s4, v3
	v_addc_co_u32_e32 v1, vcc, v1, v7, vcc
	v_mov_b32_e32 v8, s7
	v_add_co_u32_e32 v2, vcc, s6, v3
	v_addc_co_u32_e32 v3, vcc, v8, v7, vcc
	s_mov_b64 s[0:1], 0
	s_mov_b32 s2, 0x3fb8aa3b
	s_mov_b32 s4, 0xc2ce8ed0
	s_mov_b32 s5, 0x42b17218
	v_mov_b32_e32 v7, 0x7f800000
.LBB2_12:                               ; =>This Inner Loop Header: Depth=1
	global_load_dword v8, v[2:3], off
	v_add_u32_e32 v5, 32, v5
	s_waitcnt vmcnt(0)
	v_sub_f32_e32 v8, v8, v6
	v_mul_f32_e32 v9, 0x3fb8aa3b, v8
	v_fma_f32 v10, v8, s2, -v9
	v_rndne_f32_e32 v11, v9
	v_fmac_f32_e32 v10, 0x32a5705f, v8
	v_sub_f32_e32 v9, v9, v11
	v_add_f32_e32 v9, v9, v10
	v_cvt_i32_f32_e32 v11, v11
	v_exp_f32_e32 v9, v9
	v_cmp_ngt_f32_e32 vcc, s4, v8
	v_ldexp_f32 v9, v9, v11
	v_cndmask_b32_e32 v9, 0, v9, vcc
	v_cmp_nlt_f32_e32 vcc, s5, v8
	v_cndmask_b32_e32 v8, v7, v9, vcc
	s_waitcnt lgkmcnt(0)
	v_div_scale_f32 v9, s[6:7], v4, v4, v8
	v_div_scale_f32 v10, vcc, v8, v4, v8
	v_rcp_f32_e32 v11, v9
	v_fma_f32 v12, -v9, v11, 1.0
	v_fmac_f32_e32 v11, v12, v11
	v_mul_f32_e32 v12, v10, v11
	v_fma_f32 v13, -v9, v12, v10
	v_fmac_f32_e32 v12, v13, v11
	v_fma_f32 v9, -v9, v12, v10
	v_div_fmas_f32 v9, v9, v11, v12
	v_cmp_le_i32_e32 vcc, s3, v5
	s_or_b64 s[0:1], vcc, s[0:1]
	v_div_fixup_f32 v8, v9, v4, v8
	global_store_dword v[0:1], v8, off
	v_add_co_u32_e32 v0, vcc, 0x80, v0
	v_addc_co_u32_e32 v1, vcc, 0, v1, vcc
	v_add_co_u32_e32 v2, vcc, 0x80, v2
	v_addc_co_u32_e32 v3, vcc, 0, v3, vcc
	s_andn2_b64 exec, exec, s[0:1]
	s_cbranch_execnz .LBB2_12
.LBB2_13:
	s_endpgm
	.section	.rodata,"a",@progbits
	.p2align	6, 0x0
	.amdhsa_kernel _Z31softmax_forward_baseline_kernelILj32EEvPfPKfii
		.amdhsa_group_segment_fixed_size 0
		.amdhsa_private_segment_fixed_size 0
		.amdhsa_kernarg_size 280
		.amdhsa_user_sgpr_count 6
		.amdhsa_user_sgpr_private_segment_buffer 1
		.amdhsa_user_sgpr_dispatch_ptr 0
		.amdhsa_user_sgpr_queue_ptr 0
		.amdhsa_user_sgpr_kernarg_segment_ptr 1
		.amdhsa_user_sgpr_dispatch_id 0
		.amdhsa_user_sgpr_flat_scratch_init 0
		.amdhsa_user_sgpr_private_segment_size 0
		.amdhsa_uses_dynamic_stack 0
		.amdhsa_system_sgpr_private_segment_wavefront_offset 0
		.amdhsa_system_sgpr_workgroup_id_x 1
		.amdhsa_system_sgpr_workgroup_id_y 0
		.amdhsa_system_sgpr_workgroup_id_z 0
		.amdhsa_system_sgpr_workgroup_info 0
		.amdhsa_system_vgpr_workitem_id 0
		.amdhsa_next_free_vgpr 16
		.amdhsa_next_free_sgpr 14
		.amdhsa_reserve_vcc 1
		.amdhsa_reserve_flat_scratch 0
		.amdhsa_float_round_mode_32 0
		.amdhsa_float_round_mode_16_64 0
		.amdhsa_float_denorm_mode_32 3
		.amdhsa_float_denorm_mode_16_64 3
		.amdhsa_dx10_clamp 1
		.amdhsa_ieee_mode 1
		.amdhsa_fp16_overflow 0
		.amdhsa_exception_fp_ieee_invalid_op 0
		.amdhsa_exception_fp_denorm_src 0
		.amdhsa_exception_fp_ieee_div_zero 0
		.amdhsa_exception_fp_ieee_overflow 0
		.amdhsa_exception_fp_ieee_underflow 0
		.amdhsa_exception_fp_ieee_inexact 0
		.amdhsa_exception_int_div_zero 0
	.end_amdhsa_kernel
	.section	.text._Z31softmax_forward_baseline_kernelILj32EEvPfPKfii,"axG",@progbits,_Z31softmax_forward_baseline_kernelILj32EEvPfPKfii,comdat
.Lfunc_end2:
	.size	_Z31softmax_forward_baseline_kernelILj32EEvPfPKfii, .Lfunc_end2-_Z31softmax_forward_baseline_kernelILj32EEvPfPKfii
                                        ; -- End function
	.set _Z31softmax_forward_baseline_kernelILj32EEvPfPKfii.num_vgpr, 16
	.set _Z31softmax_forward_baseline_kernelILj32EEvPfPKfii.num_agpr, 0
	.set _Z31softmax_forward_baseline_kernelILj32EEvPfPKfii.numbered_sgpr, 14
	.set _Z31softmax_forward_baseline_kernelILj32EEvPfPKfii.num_named_barrier, 0
	.set _Z31softmax_forward_baseline_kernelILj32EEvPfPKfii.private_seg_size, 0
	.set _Z31softmax_forward_baseline_kernelILj32EEvPfPKfii.uses_vcc, 1
	.set _Z31softmax_forward_baseline_kernelILj32EEvPfPKfii.uses_flat_scratch, 0
	.set _Z31softmax_forward_baseline_kernelILj32EEvPfPKfii.has_dyn_sized_stack, 0
	.set _Z31softmax_forward_baseline_kernelILj32EEvPfPKfii.has_recursion, 0
	.set _Z31softmax_forward_baseline_kernelILj32EEvPfPKfii.has_indirect_call, 0
	.section	.AMDGPU.csdata,"",@progbits
; Kernel info:
; codeLenInByte = 1008
; TotalNumSgprs: 18
; NumVgprs: 16
; ScratchSize: 0
; MemoryBound: 0
; FloatMode: 240
; IeeeMode: 1
; LDSByteSize: 0 bytes/workgroup (compile time only)
; SGPRBlocks: 2
; VGPRBlocks: 3
; NumSGPRsForWavesPerEU: 18
; NumVGPRsForWavesPerEU: 16
; Occupancy: 10
; WaveLimiterHint : 0
; COMPUTE_PGM_RSRC2:SCRATCH_EN: 0
; COMPUTE_PGM_RSRC2:USER_SGPR: 6
; COMPUTE_PGM_RSRC2:TRAP_HANDLER: 0
; COMPUTE_PGM_RSRC2:TGID_X_EN: 1
; COMPUTE_PGM_RSRC2:TGID_Y_EN: 0
; COMPUTE_PGM_RSRC2:TGID_Z_EN: 0
; COMPUTE_PGM_RSRC2:TIDIG_COMP_CNT: 0
	.section	.text._Z30softmax_forward_online_kernel2ILj64EEvPfPKfii,"axG",@progbits,_Z30softmax_forward_online_kernel2ILj64EEvPfPKfii,comdat
	.protected	_Z30softmax_forward_online_kernel2ILj64EEvPfPKfii ; -- Begin function _Z30softmax_forward_online_kernel2ILj64EEvPfPKfii
	.globl	_Z30softmax_forward_online_kernel2ILj64EEvPfPKfii
	.p2align	8
	.type	_Z30softmax_forward_online_kernel2ILj64EEvPfPKfii,@function
_Z30softmax_forward_online_kernel2ILj64EEvPfPKfii: ; @_Z30softmax_forward_online_kernel2ILj64EEvPfPKfii
; %bb.0:
	s_load_dwordx2 s[8:9], s[4:5], 0x10
	s_waitcnt lgkmcnt(0)
	v_cmp_gt_i32_e32 vcc, s9, v0
	s_and_saveexec_b64 s[0:1], vcc
	s_cbranch_execz .LBB3_33
; %bb.1:
	s_load_dword s0, s[4:5], 0x24
	v_lshrrev_b32_e32 v1, 6, v0
	s_waitcnt lgkmcnt(0)
	s_bfe_u32 s0, s0, 0xa0006
	s_mul_i32 s6, s6, s0
	v_add_u32_e32 v1, s6, v1
	v_cmp_gt_i32_e32 vcc, s8, v1
	s_and_b64 exec, exec, vcc
	s_cbranch_execz .LBB3_33
; %bb.2:
	v_mul_lo_u32 v1, v1, s9
	s_load_dwordx4 s[4:7], s[4:5], 0x0
	v_and_b32_e32 v5, 63, v0
	v_cmp_gt_u32_e64 s[0:1], s9, v5
	v_ashrrev_i32_e32 v2, 31, v1
	v_lshlrev_b64 v[1:2], 2, v[1:2]
	v_mov_b32_e32 v8, 0
	v_mov_b32_e32 v6, 0xff800000
	s_and_saveexec_b64 s[10:11], s[0:1]
	s_cbranch_execz .LBB3_6
; %bb.3:
	v_and_b32_e32 v3, 63, v0
	v_lshlrev_b32_e32 v3, 2, v3
	v_add_co_u32_e32 v3, vcc, v1, v3
	v_addc_co_u32_e32 v4, vcc, 0, v2, vcc
	s_waitcnt lgkmcnt(0)
	v_mov_b32_e32 v6, s7
	v_add_co_u32_e32 v3, vcc, s6, v3
	v_mov_b32_e32 v8, 0
	v_addc_co_u32_e32 v4, vcc, v6, v4, vcc
	v_mov_b32_e32 v6, 0xff800000
	s_mov_b64 s[12:13], 0
	s_mov_b32 s8, 0x3fb8aa3b
	s_mov_b32 s14, 0xc2ce8ed0
	;; [unrolled: 1-line block ×3, first 2 shown]
	v_mov_b32_e32 v7, 0x7f800000
	v_mov_b32_e32 v9, v5
.LBB3_4:                                ; =>This Inner Loop Header: Depth=1
	global_load_dword v10, v[3:4], off
	v_mov_b32_e32 v11, v6
	v_mov_b32_e32 v12, v8
	v_max_f32_e32 v6, v11, v11
	v_add_co_u32_e32 v3, vcc, 0x100, v3
	v_add_u32_e32 v9, 64, v9
	v_addc_co_u32_e32 v4, vcc, 0, v4, vcc
	v_cmp_le_i32_e32 vcc, s9, v9
	s_or_b64 s[12:13], vcc, s[12:13]
	s_waitcnt vmcnt(0)
	v_max_f32_e32 v8, v10, v10
	v_max_f32_e32 v6, v6, v8
	v_sub_f32_e32 v8, v11, v6
	v_sub_f32_e32 v10, v10, v6
	v_mul_f32_e32 v11, 0x3fb8aa3b, v8
	v_mul_f32_e32 v13, 0x3fb8aa3b, v10
	v_fma_f32 v14, v8, s8, -v11
	v_rndne_f32_e32 v15, v11
	v_fma_f32 v16, v10, s8, -v13
	v_rndne_f32_e32 v17, v13
	v_fmac_f32_e32 v14, 0x32a5705f, v8
	v_sub_f32_e32 v11, v11, v15
	v_fmac_f32_e32 v16, 0x32a5705f, v10
	v_sub_f32_e32 v13, v13, v17
	v_add_f32_e32 v11, v11, v14
	v_add_f32_e32 v13, v13, v16
	v_cvt_i32_f32_e32 v15, v15
	v_cvt_i32_f32_e32 v17, v17
	v_exp_f32_e32 v11, v11
	v_exp_f32_e32 v13, v13
	v_cmp_ngt_f32_e32 vcc, s14, v10
	v_cmp_ngt_f32_e64 s[2:3], s14, v8
	v_ldexp_f32 v11, v11, v15
	v_ldexp_f32 v13, v13, v17
	v_cndmask_b32_e64 v11, 0, v11, s[2:3]
	v_cndmask_b32_e32 v13, 0, v13, vcc
	v_cmp_nlt_f32_e32 vcc, s15, v10
	v_cmp_nlt_f32_e64 s[2:3], s15, v8
	v_cndmask_b32_e64 v10, v7, v11, s[2:3]
	v_cndmask_b32_e32 v8, v7, v13, vcc
	v_fmac_f32_e32 v8, v12, v10
	s_andn2_b64 exec, exec, s[12:13]
	s_cbranch_execnz .LBB3_4
; %bb.5:
	s_or_b64 exec, exec, s[12:13]
.LBB3_6:
	s_or_b64 exec, exec, s[10:11]
	v_mbcnt_lo_u32_b32 v3, -1, 0
	v_mbcnt_hi_u32_b32 v4, -1, v3
	v_lshlrev_b32_e32 v3, 2, v4
	v_or_b32_e32 v9, 0x80, v3
	ds_bpermute_b32 v7, v9, v6
	ds_bpermute_b32 v9, v9, v8
	s_waitcnt lgkmcnt(0)
	v_cmp_nlt_f32_e32 vcc, v6, v7
	s_and_saveexec_b64 s[2:3], vcc
	s_xor_b64 s[2:3], exec, s[2:3]
	s_cbranch_execz .LBB3_8
; %bb.7:
	v_sub_f32_e32 v7, v7, v6
	s_mov_b32 s8, 0x3fb8aa3b
	v_mul_f32_e32 v10, 0x3fb8aa3b, v7
	v_fma_f32 v11, v7, s8, -v10
	v_rndne_f32_e32 v12, v10
	v_fmac_f32_e32 v11, 0x32a5705f, v7
	v_sub_f32_e32 v10, v10, v12
	v_add_f32_e32 v10, v10, v11
	v_exp_f32_e32 v10, v10
	v_cvt_i32_f32_e32 v11, v12
	s_mov_b32 s8, 0xc2ce8ed0
	v_cmp_ngt_f32_e32 vcc, s8, v7
	s_mov_b32 s8, 0x42b17218
	v_ldexp_f32 v10, v10, v11
	v_cndmask_b32_e32 v10, 0, v10, vcc
	v_mov_b32_e32 v11, 0x7f800000
	v_cmp_nlt_f32_e32 vcc, s8, v7
	v_cndmask_b32_e32 v7, v11, v10, vcc
	v_mul_f32_e32 v9, v7, v9
                                        ; implicit-def: $vgpr7
.LBB3_8:
	s_andn2_saveexec_b64 s[2:3], s[2:3]
	s_cbranch_execz .LBB3_10
; %bb.9:
	v_sub_f32_e32 v6, v6, v7
	s_mov_b32 s8, 0x3fb8aa3b
	v_mul_f32_e32 v10, 0x3fb8aa3b, v6
	v_fma_f32 v11, v6, s8, -v10
	v_rndne_f32_e32 v12, v10
	v_fmac_f32_e32 v11, 0x32a5705f, v6
	v_sub_f32_e32 v10, v10, v12
	v_add_f32_e32 v10, v10, v11
	v_exp_f32_e32 v10, v10
	v_cvt_i32_f32_e32 v11, v12
	s_mov_b32 s8, 0xc2ce8ed0
	v_cmp_ngt_f32_e32 vcc, s8, v6
	s_mov_b32 s8, 0x42b17218
	v_ldexp_f32 v10, v10, v11
	v_cndmask_b32_e32 v10, 0, v10, vcc
	v_mov_b32_e32 v11, 0x7f800000
	v_cmp_nlt_f32_e32 vcc, s8, v6
	v_cndmask_b32_e32 v6, v11, v10, vcc
	v_mul_f32_e32 v8, v8, v6
	v_mov_b32_e32 v6, v7
.LBB3_10:
	s_or_b64 exec, exec, s[2:3]
	v_and_b32_e32 v7, 63, v4
	v_cmp_gt_u32_e32 vcc, 48, v7
	v_add_f32_e32 v8, v8, v9
	v_cndmask_b32_e64 v9, 0, 16, vcc
	v_add_lshl_u32 v9, v9, v4, 2
	ds_bpermute_b32 v10, v9, v6
	ds_bpermute_b32 v9, v9, v8
	s_waitcnt lgkmcnt(1)
	v_cmp_nlt_f32_e32 vcc, v6, v10
	s_and_saveexec_b64 s[2:3], vcc
	s_xor_b64 s[2:3], exec, s[2:3]
	s_cbranch_execz .LBB3_12
; %bb.11:
	v_sub_f32_e32 v10, v10, v6
	s_mov_b32 s8, 0x3fb8aa3b
	v_mul_f32_e32 v11, 0x3fb8aa3b, v10
	v_fma_f32 v12, v10, s8, -v11
	v_rndne_f32_e32 v13, v11
	v_fmac_f32_e32 v12, 0x32a5705f, v10
	v_sub_f32_e32 v11, v11, v13
	v_add_f32_e32 v11, v11, v12
	v_exp_f32_e32 v11, v11
	v_cvt_i32_f32_e32 v12, v13
	s_mov_b32 s8, 0xc2ce8ed0
	v_cmp_ngt_f32_e32 vcc, s8, v10
	s_mov_b32 s8, 0x42b17218
	v_ldexp_f32 v11, v11, v12
	v_cndmask_b32_e32 v11, 0, v11, vcc
	v_mov_b32_e32 v12, 0x7f800000
	v_cmp_nlt_f32_e32 vcc, s8, v10
	v_cndmask_b32_e32 v10, v12, v11, vcc
	s_waitcnt lgkmcnt(0)
	v_mul_f32_e32 v9, v10, v9
                                        ; implicit-def: $vgpr10
.LBB3_12:
	s_andn2_saveexec_b64 s[2:3], s[2:3]
	s_cbranch_execz .LBB3_14
; %bb.13:
	v_sub_f32_e32 v6, v6, v10
	s_mov_b32 s8, 0x3fb8aa3b
	v_mul_f32_e32 v11, 0x3fb8aa3b, v6
	v_fma_f32 v12, v6, s8, -v11
	v_rndne_f32_e32 v13, v11
	v_fmac_f32_e32 v12, 0x32a5705f, v6
	v_sub_f32_e32 v11, v11, v13
	v_add_f32_e32 v11, v11, v12
	v_exp_f32_e32 v11, v11
	v_cvt_i32_f32_e32 v12, v13
	s_mov_b32 s8, 0xc2ce8ed0
	v_cmp_ngt_f32_e32 vcc, s8, v6
	s_mov_b32 s8, 0x42b17218
	v_ldexp_f32 v11, v11, v12
	v_cndmask_b32_e32 v11, 0, v11, vcc
	v_mov_b32_e32 v12, 0x7f800000
	v_cmp_nlt_f32_e32 vcc, s8, v6
	v_cndmask_b32_e32 v6, v12, v11, vcc
	v_mul_f32_e32 v8, v8, v6
	v_mov_b32_e32 v6, v10
.LBB3_14:
	s_or_b64 exec, exec, s[2:3]
	v_cmp_gt_u32_e32 vcc, 56, v7
	s_waitcnt lgkmcnt(0)
	v_add_f32_e32 v8, v8, v9
	v_cndmask_b32_e64 v9, 0, 8, vcc
	v_add_lshl_u32 v9, v9, v4, 2
	ds_bpermute_b32 v10, v9, v6
	ds_bpermute_b32 v9, v9, v8
	s_waitcnt lgkmcnt(1)
	v_cmp_nlt_f32_e32 vcc, v6, v10
	s_and_saveexec_b64 s[2:3], vcc
	s_xor_b64 s[2:3], exec, s[2:3]
	s_cbranch_execz .LBB3_16
; %bb.15:
	v_sub_f32_e32 v10, v10, v6
	s_mov_b32 s8, 0x3fb8aa3b
	v_mul_f32_e32 v11, 0x3fb8aa3b, v10
	v_fma_f32 v12, v10, s8, -v11
	v_rndne_f32_e32 v13, v11
	v_fmac_f32_e32 v12, 0x32a5705f, v10
	v_sub_f32_e32 v11, v11, v13
	v_add_f32_e32 v11, v11, v12
	v_exp_f32_e32 v11, v11
	v_cvt_i32_f32_e32 v12, v13
	s_mov_b32 s8, 0xc2ce8ed0
	v_cmp_ngt_f32_e32 vcc, s8, v10
	s_mov_b32 s8, 0x42b17218
	v_ldexp_f32 v11, v11, v12
	v_cndmask_b32_e32 v11, 0, v11, vcc
	v_mov_b32_e32 v12, 0x7f800000
	v_cmp_nlt_f32_e32 vcc, s8, v10
	v_cndmask_b32_e32 v10, v12, v11, vcc
	s_waitcnt lgkmcnt(0)
	v_mul_f32_e32 v9, v10, v9
                                        ; implicit-def: $vgpr10
.LBB3_16:
	s_andn2_saveexec_b64 s[2:3], s[2:3]
	s_cbranch_execz .LBB3_18
; %bb.17:
	v_sub_f32_e32 v6, v6, v10
	s_mov_b32 s8, 0x3fb8aa3b
	v_mul_f32_e32 v11, 0x3fb8aa3b, v6
	v_fma_f32 v12, v6, s8, -v11
	v_rndne_f32_e32 v13, v11
	v_fmac_f32_e32 v12, 0x32a5705f, v6
	v_sub_f32_e32 v11, v11, v13
	v_add_f32_e32 v11, v11, v12
	v_exp_f32_e32 v11, v11
	v_cvt_i32_f32_e32 v12, v13
	s_mov_b32 s8, 0xc2ce8ed0
	v_cmp_ngt_f32_e32 vcc, s8, v6
	s_mov_b32 s8, 0x42b17218
	v_ldexp_f32 v11, v11, v12
	v_cndmask_b32_e32 v11, 0, v11, vcc
	v_mov_b32_e32 v12, 0x7f800000
	v_cmp_nlt_f32_e32 vcc, s8, v6
	v_cndmask_b32_e32 v6, v12, v11, vcc
	v_mul_f32_e32 v8, v8, v6
	v_mov_b32_e32 v6, v10
.LBB3_18:
	s_or_b64 exec, exec, s[2:3]
	v_cmp_gt_u32_e32 vcc, 60, v7
	s_waitcnt lgkmcnt(0)
	;; [unrolled: 60-line block ×3, first 2 shown]
	v_add_f32_e32 v8, v8, v9
	v_cndmask_b32_e64 v9, 0, 2, vcc
	v_add_lshl_u32 v9, v9, v4, 2
	ds_bpermute_b32 v10, v9, v6
	ds_bpermute_b32 v9, v9, v8
	s_waitcnt lgkmcnt(1)
	v_cmp_nlt_f32_e32 vcc, v6, v10
	s_and_saveexec_b64 s[2:3], vcc
	s_xor_b64 s[2:3], exec, s[2:3]
	s_cbranch_execz .LBB3_24
; %bb.23:
	v_sub_f32_e32 v10, v10, v6
	s_mov_b32 s8, 0x3fb8aa3b
	v_mul_f32_e32 v11, 0x3fb8aa3b, v10
	v_fma_f32 v12, v10, s8, -v11
	v_rndne_f32_e32 v13, v11
	v_fmac_f32_e32 v12, 0x32a5705f, v10
	v_sub_f32_e32 v11, v11, v13
	v_add_f32_e32 v11, v11, v12
	v_exp_f32_e32 v11, v11
	v_cvt_i32_f32_e32 v12, v13
	s_mov_b32 s8, 0xc2ce8ed0
	v_cmp_ngt_f32_e32 vcc, s8, v10
	s_mov_b32 s8, 0x42b17218
	v_ldexp_f32 v11, v11, v12
	v_cndmask_b32_e32 v11, 0, v11, vcc
	v_mov_b32_e32 v12, 0x7f800000
	v_cmp_nlt_f32_e32 vcc, s8, v10
	v_cndmask_b32_e32 v10, v12, v11, vcc
	s_waitcnt lgkmcnt(0)
	v_mul_f32_e32 v9, v10, v9
                                        ; implicit-def: $vgpr10
.LBB3_24:
	s_andn2_saveexec_b64 s[2:3], s[2:3]
	s_cbranch_execz .LBB3_26
; %bb.25:
	v_sub_f32_e32 v6, v6, v10
	s_mov_b32 s8, 0x3fb8aa3b
	v_mul_f32_e32 v11, 0x3fb8aa3b, v6
	v_fma_f32 v12, v6, s8, -v11
	v_rndne_f32_e32 v13, v11
	v_fmac_f32_e32 v12, 0x32a5705f, v6
	v_sub_f32_e32 v11, v11, v13
	v_add_f32_e32 v11, v11, v12
	v_exp_f32_e32 v11, v11
	v_cvt_i32_f32_e32 v12, v13
	s_mov_b32 s8, 0xc2ce8ed0
	v_cmp_ngt_f32_e32 vcc, s8, v6
	s_mov_b32 s8, 0x42b17218
	v_ldexp_f32 v11, v11, v12
	v_cndmask_b32_e32 v11, 0, v11, vcc
	v_mov_b32_e32 v12, 0x7f800000
	v_cmp_nlt_f32_e32 vcc, s8, v6
	v_cndmask_b32_e32 v6, v12, v11, vcc
	v_mul_f32_e32 v8, v8, v6
	v_mov_b32_e32 v6, v10
.LBB3_26:
	s_or_b64 exec, exec, s[2:3]
	v_cmp_ne_u32_e32 vcc, 63, v7
	v_addc_co_u32_e32 v4, vcc, 0, v4, vcc
	v_lshlrev_b32_e32 v4, 2, v4
	s_waitcnt lgkmcnt(0)
	v_add_f32_e32 v8, v8, v9
	ds_bpermute_b32 v7, v4, v6
	ds_bpermute_b32 v4, v4, v8
	s_waitcnt lgkmcnt(1)
	v_cmp_nlt_f32_e32 vcc, v6, v7
	s_and_saveexec_b64 s[2:3], vcc
	s_xor_b64 s[2:3], exec, s[2:3]
	s_cbranch_execz .LBB3_28
; %bb.27:
	v_sub_f32_e32 v7, v7, v6
	s_mov_b32 s8, 0x3fb8aa3b
	v_mul_f32_e32 v9, 0x3fb8aa3b, v7
	v_fma_f32 v10, v7, s8, -v9
	v_rndne_f32_e32 v11, v9
	v_fmac_f32_e32 v10, 0x32a5705f, v7
	v_sub_f32_e32 v9, v9, v11
	v_add_f32_e32 v9, v9, v10
	v_exp_f32_e32 v9, v9
	v_cvt_i32_f32_e32 v10, v11
	s_mov_b32 s8, 0xc2ce8ed0
	v_cmp_ngt_f32_e32 vcc, s8, v7
	s_mov_b32 s8, 0x42b17218
	v_ldexp_f32 v9, v9, v10
	v_cndmask_b32_e32 v9, 0, v9, vcc
	v_mov_b32_e32 v10, 0x7f800000
	v_cmp_nlt_f32_e32 vcc, s8, v7
	v_cndmask_b32_e32 v7, v10, v9, vcc
	s_waitcnt lgkmcnt(0)
	v_mul_f32_e32 v4, v7, v4
                                        ; implicit-def: $vgpr7
.LBB3_28:
	s_andn2_saveexec_b64 s[2:3], s[2:3]
	s_cbranch_execz .LBB3_30
; %bb.29:
	v_sub_f32_e32 v6, v6, v7
	s_mov_b32 s8, 0x3fb8aa3b
	v_mul_f32_e32 v9, 0x3fb8aa3b, v6
	v_fma_f32 v10, v6, s8, -v9
	v_rndne_f32_e32 v11, v9
	v_fmac_f32_e32 v10, 0x32a5705f, v6
	v_sub_f32_e32 v9, v9, v11
	v_add_f32_e32 v9, v9, v10
	v_exp_f32_e32 v9, v9
	v_cvt_i32_f32_e32 v10, v11
	s_mov_b32 s8, 0xc2ce8ed0
	v_cmp_ngt_f32_e32 vcc, s8, v6
	s_mov_b32 s8, 0x42b17218
	v_ldexp_f32 v9, v9, v10
	v_cndmask_b32_e32 v9, 0, v9, vcc
	v_mov_b32_e32 v10, 0x7f800000
	v_cmp_nlt_f32_e32 vcc, s8, v6
	v_cndmask_b32_e32 v6, v10, v9, vcc
	v_mul_f32_e32 v8, v8, v6
	v_mov_b32_e32 v6, v7
.LBB3_30:
	s_or_b64 exec, exec, s[2:3]
	s_waitcnt lgkmcnt(0)
	v_add_f32_e32 v7, v8, v4
	v_and_b32_e32 v3, 0x100, v3
	ds_bpermute_b32 v4, v3, v6
	ds_bpermute_b32 v6, v3, v7
	s_and_b64 exec, exec, s[0:1]
	s_cbranch_execz .LBB3_33
; %bb.31:
	v_and_b32_e32 v0, 63, v0
	v_lshlrev_b32_e32 v0, 2, v0
	v_add_co_u32_e32 v3, vcc, v1, v0
	v_addc_co_u32_e32 v7, vcc, 0, v2, vcc
	v_mov_b32_e32 v1, s5
	v_add_co_u32_e32 v0, vcc, s4, v3
	v_addc_co_u32_e32 v1, vcc, v1, v7, vcc
	v_mov_b32_e32 v8, s7
	v_add_co_u32_e32 v2, vcc, s6, v3
	v_addc_co_u32_e32 v3, vcc, v8, v7, vcc
	s_mov_b64 s[0:1], 0
	s_mov_b32 s2, 0x3fb8aa3b
	s_mov_b32 s3, 0xc2ce8ed0
	;; [unrolled: 1-line block ×3, first 2 shown]
	v_mov_b32_e32 v7, 0x7f800000
.LBB3_32:                               ; =>This Inner Loop Header: Depth=1
	global_load_dword v8, v[2:3], off
	v_add_u32_e32 v5, 64, v5
	s_waitcnt vmcnt(0) lgkmcnt(1)
	v_sub_f32_e32 v8, v8, v4
	v_mul_f32_e32 v9, 0x3fb8aa3b, v8
	v_fma_f32 v10, v8, s2, -v9
	v_rndne_f32_e32 v11, v9
	v_fmac_f32_e32 v10, 0x32a5705f, v8
	v_sub_f32_e32 v9, v9, v11
	v_add_f32_e32 v9, v9, v10
	v_cvt_i32_f32_e32 v11, v11
	v_exp_f32_e32 v9, v9
	v_cmp_ngt_f32_e32 vcc, s3, v8
	v_ldexp_f32 v9, v9, v11
	v_cndmask_b32_e32 v9, 0, v9, vcc
	v_cmp_nlt_f32_e32 vcc, s4, v8
	v_cndmask_b32_e32 v8, v7, v9, vcc
	s_waitcnt lgkmcnt(0)
	v_div_scale_f32 v9, s[6:7], v6, v6, v8
	v_div_scale_f32 v10, vcc, v8, v6, v8
	v_rcp_f32_e32 v11, v9
	v_fma_f32 v12, -v9, v11, 1.0
	v_fmac_f32_e32 v11, v12, v11
	v_mul_f32_e32 v12, v10, v11
	v_fma_f32 v13, -v9, v12, v10
	v_fmac_f32_e32 v12, v13, v11
	v_fma_f32 v9, -v9, v12, v10
	v_div_fmas_f32 v9, v9, v11, v12
	v_cmp_le_i32_e32 vcc, s9, v5
	s_or_b64 s[0:1], vcc, s[0:1]
	v_div_fixup_f32 v8, v9, v6, v8
	global_store_dword v[0:1], v8, off
	v_add_co_u32_e32 v0, vcc, 0x100, v0
	v_addc_co_u32_e32 v1, vcc, 0, v1, vcc
	v_add_co_u32_e32 v2, vcc, 0x100, v2
	v_addc_co_u32_e32 v3, vcc, 0, v3, vcc
	s_andn2_b64 exec, exec, s[0:1]
	s_cbranch_execnz .LBB3_32
.LBB3_33:
	s_endpgm
	.section	.rodata,"a",@progbits
	.p2align	6, 0x0
	.amdhsa_kernel _Z30softmax_forward_online_kernel2ILj64EEvPfPKfii
		.amdhsa_group_segment_fixed_size 0
		.amdhsa_private_segment_fixed_size 0
		.amdhsa_kernarg_size 280
		.amdhsa_user_sgpr_count 6
		.amdhsa_user_sgpr_private_segment_buffer 1
		.amdhsa_user_sgpr_dispatch_ptr 0
		.amdhsa_user_sgpr_queue_ptr 0
		.amdhsa_user_sgpr_kernarg_segment_ptr 1
		.amdhsa_user_sgpr_dispatch_id 0
		.amdhsa_user_sgpr_flat_scratch_init 0
		.amdhsa_user_sgpr_private_segment_size 0
		.amdhsa_uses_dynamic_stack 0
		.amdhsa_system_sgpr_private_segment_wavefront_offset 0
		.amdhsa_system_sgpr_workgroup_id_x 1
		.amdhsa_system_sgpr_workgroup_id_y 0
		.amdhsa_system_sgpr_workgroup_id_z 0
		.amdhsa_system_sgpr_workgroup_info 0
		.amdhsa_system_vgpr_workitem_id 0
		.amdhsa_next_free_vgpr 18
		.amdhsa_next_free_sgpr 16
		.amdhsa_reserve_vcc 1
		.amdhsa_reserve_flat_scratch 0
		.amdhsa_float_round_mode_32 0
		.amdhsa_float_round_mode_16_64 0
		.amdhsa_float_denorm_mode_32 3
		.amdhsa_float_denorm_mode_16_64 3
		.amdhsa_dx10_clamp 1
		.amdhsa_ieee_mode 1
		.amdhsa_fp16_overflow 0
		.amdhsa_exception_fp_ieee_invalid_op 0
		.amdhsa_exception_fp_denorm_src 0
		.amdhsa_exception_fp_ieee_div_zero 0
		.amdhsa_exception_fp_ieee_overflow 0
		.amdhsa_exception_fp_ieee_underflow 0
		.amdhsa_exception_fp_ieee_inexact 0
		.amdhsa_exception_int_div_zero 0
	.end_amdhsa_kernel
	.section	.text._Z30softmax_forward_online_kernel2ILj64EEvPfPKfii,"axG",@progbits,_Z30softmax_forward_online_kernel2ILj64EEvPfPKfii,comdat
.Lfunc_end3:
	.size	_Z30softmax_forward_online_kernel2ILj64EEvPfPKfii, .Lfunc_end3-_Z30softmax_forward_online_kernel2ILj64EEvPfPKfii
                                        ; -- End function
	.set _Z30softmax_forward_online_kernel2ILj64EEvPfPKfii.num_vgpr, 18
	.set _Z30softmax_forward_online_kernel2ILj64EEvPfPKfii.num_agpr, 0
	.set _Z30softmax_forward_online_kernel2ILj64EEvPfPKfii.numbered_sgpr, 16
	.set _Z30softmax_forward_online_kernel2ILj64EEvPfPKfii.num_named_barrier, 0
	.set _Z30softmax_forward_online_kernel2ILj64EEvPfPKfii.private_seg_size, 0
	.set _Z30softmax_forward_online_kernel2ILj64EEvPfPKfii.uses_vcc, 1
	.set _Z30softmax_forward_online_kernel2ILj64EEvPfPKfii.uses_flat_scratch, 0
	.set _Z30softmax_forward_online_kernel2ILj64EEvPfPKfii.has_dyn_sized_stack, 0
	.set _Z30softmax_forward_online_kernel2ILj64EEvPfPKfii.has_recursion, 0
	.set _Z30softmax_forward_online_kernel2ILj64EEvPfPKfii.has_indirect_call, 0
	.section	.AMDGPU.csdata,"",@progbits
; Kernel info:
; codeLenInByte = 2568
; TotalNumSgprs: 20
; NumVgprs: 18
; ScratchSize: 0
; MemoryBound: 0
; FloatMode: 240
; IeeeMode: 1
; LDSByteSize: 0 bytes/workgroup (compile time only)
; SGPRBlocks: 2
; VGPRBlocks: 4
; NumSGPRsForWavesPerEU: 20
; NumVGPRsForWavesPerEU: 18
; Occupancy: 10
; WaveLimiterHint : 0
; COMPUTE_PGM_RSRC2:SCRATCH_EN: 0
; COMPUTE_PGM_RSRC2:USER_SGPR: 6
; COMPUTE_PGM_RSRC2:TRAP_HANDLER: 0
; COMPUTE_PGM_RSRC2:TGID_X_EN: 1
; COMPUTE_PGM_RSRC2:TGID_Y_EN: 0
; COMPUTE_PGM_RSRC2:TGID_Z_EN: 0
; COMPUTE_PGM_RSRC2:TIDIG_COMP_CNT: 0
	.section	.text._Z30softmax_forward_online_kernel2ILj32EEvPfPKfii,"axG",@progbits,_Z30softmax_forward_online_kernel2ILj32EEvPfPKfii,comdat
	.protected	_Z30softmax_forward_online_kernel2ILj32EEvPfPKfii ; -- Begin function _Z30softmax_forward_online_kernel2ILj32EEvPfPKfii
	.globl	_Z30softmax_forward_online_kernel2ILj32EEvPfPKfii
	.p2align	8
	.type	_Z30softmax_forward_online_kernel2ILj32EEvPfPKfii,@function
_Z30softmax_forward_online_kernel2ILj32EEvPfPKfii: ; @_Z30softmax_forward_online_kernel2ILj32EEvPfPKfii
; %bb.0:
	s_load_dwordx2 s[8:9], s[4:5], 0x10
	s_waitcnt lgkmcnt(0)
	v_cmp_gt_i32_e32 vcc, s9, v0
	s_and_saveexec_b64 s[0:1], vcc
	s_cbranch_execz .LBB4_29
; %bb.1:
	s_load_dword s0, s[4:5], 0x24
	v_lshrrev_b32_e32 v1, 5, v0
	s_waitcnt lgkmcnt(0)
	s_bfe_u32 s0, s0, 0xb0005
	s_mul_i32 s6, s6, s0
	v_add_u32_e32 v1, s6, v1
	v_cmp_gt_i32_e32 vcc, s8, v1
	s_and_b64 exec, exec, vcc
	s_cbranch_execz .LBB4_29
; %bb.2:
	v_mul_lo_u32 v1, v1, s9
	s_load_dwordx4 s[4:7], s[4:5], 0x0
	v_and_b32_e32 v5, 31, v0
	v_cmp_gt_u32_e64 s[0:1], s9, v5
	v_ashrrev_i32_e32 v2, 31, v1
	v_lshlrev_b64 v[1:2], 2, v[1:2]
	v_mov_b32_e32 v7, 0
	v_mov_b32_e32 v6, 0xff800000
	s_and_saveexec_b64 s[10:11], s[0:1]
	s_cbranch_execz .LBB4_6
; %bb.3:
	v_and_b32_e32 v3, 31, v0
	v_lshlrev_b32_e32 v3, 2, v3
	v_add_co_u32_e32 v3, vcc, v1, v3
	v_addc_co_u32_e32 v4, vcc, 0, v2, vcc
	s_waitcnt lgkmcnt(0)
	v_mov_b32_e32 v6, s7
	v_add_co_u32_e32 v3, vcc, s6, v3
	v_mov_b32_e32 v7, 0
	v_addc_co_u32_e32 v4, vcc, v6, v4, vcc
	v_mov_b32_e32 v6, 0xff800000
	s_mov_b64 s[12:13], 0
	s_mov_b32 s8, 0x3fb8aa3b
	s_mov_b32 s14, 0xc2ce8ed0
	;; [unrolled: 1-line block ×3, first 2 shown]
	v_mov_b32_e32 v8, 0x7f800000
	v_mov_b32_e32 v9, v5
.LBB4_4:                                ; =>This Inner Loop Header: Depth=1
	global_load_dword v10, v[3:4], off
	v_mov_b32_e32 v11, v6
	v_mov_b32_e32 v12, v7
	v_max_f32_e32 v6, v11, v11
	v_add_co_u32_e32 v3, vcc, 0x80, v3
	v_add_u32_e32 v9, 32, v9
	v_addc_co_u32_e32 v4, vcc, 0, v4, vcc
	v_cmp_le_i32_e32 vcc, s9, v9
	s_or_b64 s[12:13], vcc, s[12:13]
	s_waitcnt vmcnt(0)
	v_max_f32_e32 v7, v10, v10
	v_max_f32_e32 v6, v6, v7
	v_sub_f32_e32 v7, v11, v6
	v_sub_f32_e32 v10, v10, v6
	v_mul_f32_e32 v11, 0x3fb8aa3b, v7
	v_mul_f32_e32 v13, 0x3fb8aa3b, v10
	v_fma_f32 v14, v7, s8, -v11
	v_rndne_f32_e32 v15, v11
	v_fma_f32 v16, v10, s8, -v13
	v_rndne_f32_e32 v17, v13
	v_fmac_f32_e32 v14, 0x32a5705f, v7
	v_sub_f32_e32 v11, v11, v15
	v_fmac_f32_e32 v16, 0x32a5705f, v10
	v_sub_f32_e32 v13, v13, v17
	v_add_f32_e32 v11, v11, v14
	v_add_f32_e32 v13, v13, v16
	v_cvt_i32_f32_e32 v15, v15
	v_cvt_i32_f32_e32 v17, v17
	v_exp_f32_e32 v11, v11
	v_exp_f32_e32 v13, v13
	v_cmp_ngt_f32_e32 vcc, s14, v10
	v_cmp_ngt_f32_e64 s[2:3], s14, v7
	v_ldexp_f32 v11, v11, v15
	v_ldexp_f32 v13, v13, v17
	v_cndmask_b32_e64 v11, 0, v11, s[2:3]
	v_cndmask_b32_e32 v13, 0, v13, vcc
	v_cmp_nlt_f32_e32 vcc, s15, v10
	v_cmp_nlt_f32_e64 s[2:3], s15, v7
	v_cndmask_b32_e64 v10, v8, v11, s[2:3]
	v_cndmask_b32_e32 v7, v8, v13, vcc
	v_fmac_f32_e32 v7, v12, v10
	s_andn2_b64 exec, exec, s[12:13]
	s_cbranch_execnz .LBB4_4
; %bb.5:
	s_or_b64 exec, exec, s[12:13]
.LBB4_6:
	s_or_b64 exec, exec, s[10:11]
	v_mbcnt_lo_u32_b32 v3, -1, 0
	v_mbcnt_hi_u32_b32 v3, -1, v3
	v_and_b32_e32 v4, 63, v3
	v_cmp_gt_u32_e32 vcc, 48, v4
	v_cndmask_b32_e64 v8, 0, 16, vcc
	v_add_lshl_u32 v8, v8, v3, 2
	ds_bpermute_b32 v9, v8, v6
	ds_bpermute_b32 v8, v8, v7
	s_waitcnt lgkmcnt(0)
	v_cmp_nlt_f32_e32 vcc, v6, v9
	s_and_saveexec_b64 s[2:3], vcc
	s_xor_b64 s[2:3], exec, s[2:3]
	s_cbranch_execz .LBB4_8
; %bb.7:
	v_sub_f32_e32 v9, v9, v6
	s_mov_b32 s8, 0x3fb8aa3b
	v_mul_f32_e32 v10, 0x3fb8aa3b, v9
	v_fma_f32 v11, v9, s8, -v10
	v_rndne_f32_e32 v12, v10
	v_fmac_f32_e32 v11, 0x32a5705f, v9
	v_sub_f32_e32 v10, v10, v12
	v_add_f32_e32 v10, v10, v11
	v_exp_f32_e32 v10, v10
	v_cvt_i32_f32_e32 v11, v12
	s_mov_b32 s8, 0xc2ce8ed0
	v_cmp_ngt_f32_e32 vcc, s8, v9
	s_mov_b32 s8, 0x42b17218
	v_ldexp_f32 v10, v10, v11
	v_cndmask_b32_e32 v10, 0, v10, vcc
	v_mov_b32_e32 v11, 0x7f800000
	v_cmp_nlt_f32_e32 vcc, s8, v9
	v_cndmask_b32_e32 v9, v11, v10, vcc
	v_mul_f32_e32 v8, v9, v8
                                        ; implicit-def: $vgpr9
.LBB4_8:
	s_andn2_saveexec_b64 s[2:3], s[2:3]
	s_cbranch_execz .LBB4_10
; %bb.9:
	v_sub_f32_e32 v6, v6, v9
	s_mov_b32 s8, 0x3fb8aa3b
	v_mul_f32_e32 v10, 0x3fb8aa3b, v6
	v_fma_f32 v11, v6, s8, -v10
	v_rndne_f32_e32 v12, v10
	v_fmac_f32_e32 v11, 0x32a5705f, v6
	v_sub_f32_e32 v10, v10, v12
	v_add_f32_e32 v10, v10, v11
	v_exp_f32_e32 v10, v10
	v_cvt_i32_f32_e32 v11, v12
	s_mov_b32 s8, 0xc2ce8ed0
	v_cmp_ngt_f32_e32 vcc, s8, v6
	s_mov_b32 s8, 0x42b17218
	v_ldexp_f32 v10, v10, v11
	v_cndmask_b32_e32 v10, 0, v10, vcc
	v_mov_b32_e32 v11, 0x7f800000
	v_cmp_nlt_f32_e32 vcc, s8, v6
	v_cndmask_b32_e32 v6, v11, v10, vcc
	v_mul_f32_e32 v7, v7, v6
	v_mov_b32_e32 v6, v9
.LBB4_10:
	s_or_b64 exec, exec, s[2:3]
	v_cmp_gt_u32_e32 vcc, 56, v4
	v_add_f32_e32 v7, v7, v8
	v_cndmask_b32_e64 v8, 0, 8, vcc
	v_add_lshl_u32 v8, v8, v3, 2
	ds_bpermute_b32 v9, v8, v6
	ds_bpermute_b32 v8, v8, v7
	s_waitcnt lgkmcnt(1)
	v_cmp_nlt_f32_e32 vcc, v6, v9
	s_and_saveexec_b64 s[2:3], vcc
	s_xor_b64 s[2:3], exec, s[2:3]
	s_cbranch_execz .LBB4_12
; %bb.11:
	v_sub_f32_e32 v9, v9, v6
	s_mov_b32 s8, 0x3fb8aa3b
	v_mul_f32_e32 v10, 0x3fb8aa3b, v9
	v_fma_f32 v11, v9, s8, -v10
	v_rndne_f32_e32 v12, v10
	v_fmac_f32_e32 v11, 0x32a5705f, v9
	v_sub_f32_e32 v10, v10, v12
	v_add_f32_e32 v10, v10, v11
	v_exp_f32_e32 v10, v10
	v_cvt_i32_f32_e32 v11, v12
	s_mov_b32 s8, 0xc2ce8ed0
	v_cmp_ngt_f32_e32 vcc, s8, v9
	s_mov_b32 s8, 0x42b17218
	v_ldexp_f32 v10, v10, v11
	v_cndmask_b32_e32 v10, 0, v10, vcc
	v_mov_b32_e32 v11, 0x7f800000
	v_cmp_nlt_f32_e32 vcc, s8, v9
	v_cndmask_b32_e32 v9, v11, v10, vcc
	s_waitcnt lgkmcnt(0)
	v_mul_f32_e32 v8, v9, v8
                                        ; implicit-def: $vgpr9
.LBB4_12:
	s_andn2_saveexec_b64 s[2:3], s[2:3]
	s_cbranch_execz .LBB4_14
; %bb.13:
	v_sub_f32_e32 v6, v6, v9
	s_mov_b32 s8, 0x3fb8aa3b
	v_mul_f32_e32 v10, 0x3fb8aa3b, v6
	v_fma_f32 v11, v6, s8, -v10
	v_rndne_f32_e32 v12, v10
	v_fmac_f32_e32 v11, 0x32a5705f, v6
	v_sub_f32_e32 v10, v10, v12
	v_add_f32_e32 v10, v10, v11
	v_exp_f32_e32 v10, v10
	v_cvt_i32_f32_e32 v11, v12
	s_mov_b32 s8, 0xc2ce8ed0
	v_cmp_ngt_f32_e32 vcc, s8, v6
	s_mov_b32 s8, 0x42b17218
	v_ldexp_f32 v10, v10, v11
	v_cndmask_b32_e32 v10, 0, v10, vcc
	v_mov_b32_e32 v11, 0x7f800000
	v_cmp_nlt_f32_e32 vcc, s8, v6
	v_cndmask_b32_e32 v6, v11, v10, vcc
	v_mul_f32_e32 v7, v7, v6
	v_mov_b32_e32 v6, v9
.LBB4_14:
	s_or_b64 exec, exec, s[2:3]
	v_cmp_gt_u32_e32 vcc, 60, v4
	s_waitcnt lgkmcnt(0)
	v_add_f32_e32 v7, v7, v8
	v_cndmask_b32_e64 v8, 0, 4, vcc
	v_add_lshl_u32 v8, v8, v3, 2
	ds_bpermute_b32 v9, v8, v6
	ds_bpermute_b32 v8, v8, v7
	s_waitcnt lgkmcnt(1)
	v_cmp_nlt_f32_e32 vcc, v6, v9
	s_and_saveexec_b64 s[2:3], vcc
	s_xor_b64 s[2:3], exec, s[2:3]
	s_cbranch_execz .LBB4_16
; %bb.15:
	v_sub_f32_e32 v9, v9, v6
	s_mov_b32 s8, 0x3fb8aa3b
	v_mul_f32_e32 v10, 0x3fb8aa3b, v9
	v_fma_f32 v11, v9, s8, -v10
	v_rndne_f32_e32 v12, v10
	v_fmac_f32_e32 v11, 0x32a5705f, v9
	v_sub_f32_e32 v10, v10, v12
	v_add_f32_e32 v10, v10, v11
	v_exp_f32_e32 v10, v10
	v_cvt_i32_f32_e32 v11, v12
	s_mov_b32 s8, 0xc2ce8ed0
	v_cmp_ngt_f32_e32 vcc, s8, v9
	s_mov_b32 s8, 0x42b17218
	v_ldexp_f32 v10, v10, v11
	v_cndmask_b32_e32 v10, 0, v10, vcc
	v_mov_b32_e32 v11, 0x7f800000
	v_cmp_nlt_f32_e32 vcc, s8, v9
	v_cndmask_b32_e32 v9, v11, v10, vcc
	s_waitcnt lgkmcnt(0)
	v_mul_f32_e32 v8, v9, v8
                                        ; implicit-def: $vgpr9
.LBB4_16:
	s_andn2_saveexec_b64 s[2:3], s[2:3]
	s_cbranch_execz .LBB4_18
; %bb.17:
	v_sub_f32_e32 v6, v6, v9
	s_mov_b32 s8, 0x3fb8aa3b
	v_mul_f32_e32 v10, 0x3fb8aa3b, v6
	v_fma_f32 v11, v6, s8, -v10
	v_rndne_f32_e32 v12, v10
	v_fmac_f32_e32 v11, 0x32a5705f, v6
	v_sub_f32_e32 v10, v10, v12
	v_add_f32_e32 v10, v10, v11
	v_exp_f32_e32 v10, v10
	v_cvt_i32_f32_e32 v11, v12
	s_mov_b32 s8, 0xc2ce8ed0
	v_cmp_ngt_f32_e32 vcc, s8, v6
	s_mov_b32 s8, 0x42b17218
	v_ldexp_f32 v10, v10, v11
	v_cndmask_b32_e32 v10, 0, v10, vcc
	v_mov_b32_e32 v11, 0x7f800000
	v_cmp_nlt_f32_e32 vcc, s8, v6
	v_cndmask_b32_e32 v6, v11, v10, vcc
	v_mul_f32_e32 v7, v7, v6
	v_mov_b32_e32 v6, v9
.LBB4_18:
	s_or_b64 exec, exec, s[2:3]
	v_cmp_gt_u32_e32 vcc, 62, v4
	s_waitcnt lgkmcnt(0)
	v_add_f32_e32 v7, v7, v8
	v_cndmask_b32_e64 v8, 0, 2, vcc
	v_add_lshl_u32 v8, v8, v3, 2
	ds_bpermute_b32 v9, v8, v6
	ds_bpermute_b32 v8, v8, v7
	s_waitcnt lgkmcnt(1)
	v_cmp_nlt_f32_e32 vcc, v6, v9
	s_and_saveexec_b64 s[2:3], vcc
	s_xor_b64 s[2:3], exec, s[2:3]
	s_cbranch_execz .LBB4_20
; %bb.19:
	v_sub_f32_e32 v9, v9, v6
	s_mov_b32 s8, 0x3fb8aa3b
	v_mul_f32_e32 v10, 0x3fb8aa3b, v9
	v_fma_f32 v11, v9, s8, -v10
	v_rndne_f32_e32 v12, v10
	v_fmac_f32_e32 v11, 0x32a5705f, v9
	v_sub_f32_e32 v10, v10, v12
	v_add_f32_e32 v10, v10, v11
	v_exp_f32_e32 v10, v10
	v_cvt_i32_f32_e32 v11, v12
	s_mov_b32 s8, 0xc2ce8ed0
	v_cmp_ngt_f32_e32 vcc, s8, v9
	s_mov_b32 s8, 0x42b17218
	v_ldexp_f32 v10, v10, v11
	v_cndmask_b32_e32 v10, 0, v10, vcc
	v_mov_b32_e32 v11, 0x7f800000
	v_cmp_nlt_f32_e32 vcc, s8, v9
	v_cndmask_b32_e32 v9, v11, v10, vcc
	s_waitcnt lgkmcnt(0)
	v_mul_f32_e32 v8, v9, v8
                                        ; implicit-def: $vgpr9
.LBB4_20:
	s_andn2_saveexec_b64 s[2:3], s[2:3]
	s_cbranch_execz .LBB4_22
; %bb.21:
	v_sub_f32_e32 v6, v6, v9
	s_mov_b32 s8, 0x3fb8aa3b
	v_mul_f32_e32 v10, 0x3fb8aa3b, v6
	v_fma_f32 v11, v6, s8, -v10
	v_rndne_f32_e32 v12, v10
	v_fmac_f32_e32 v11, 0x32a5705f, v6
	v_sub_f32_e32 v10, v10, v12
	v_add_f32_e32 v10, v10, v11
	v_exp_f32_e32 v10, v10
	v_cvt_i32_f32_e32 v11, v12
	s_mov_b32 s8, 0xc2ce8ed0
	v_cmp_ngt_f32_e32 vcc, s8, v6
	s_mov_b32 s8, 0x42b17218
	v_ldexp_f32 v10, v10, v11
	v_cndmask_b32_e32 v10, 0, v10, vcc
	v_mov_b32_e32 v11, 0x7f800000
	v_cmp_nlt_f32_e32 vcc, s8, v6
	v_cndmask_b32_e32 v6, v11, v10, vcc
	v_mul_f32_e32 v7, v7, v6
	v_mov_b32_e32 v6, v9
.LBB4_22:
	s_or_b64 exec, exec, s[2:3]
	v_cmp_ne_u32_e32 vcc, 63, v4
	v_addc_co_u32_e32 v4, vcc, 0, v3, vcc
	v_lshlrev_b32_e32 v4, 2, v4
	s_waitcnt lgkmcnt(0)
	v_add_f32_e32 v7, v7, v8
	ds_bpermute_b32 v8, v4, v6
	ds_bpermute_b32 v4, v4, v7
	s_waitcnt lgkmcnt(1)
	v_cmp_nlt_f32_e32 vcc, v6, v8
	s_and_saveexec_b64 s[2:3], vcc
	s_xor_b64 s[2:3], exec, s[2:3]
	s_cbranch_execz .LBB4_24
; %bb.23:
	v_sub_f32_e32 v8, v8, v6
	s_mov_b32 s8, 0x3fb8aa3b
	v_mul_f32_e32 v9, 0x3fb8aa3b, v8
	v_fma_f32 v10, v8, s8, -v9
	v_rndne_f32_e32 v11, v9
	v_fmac_f32_e32 v10, 0x32a5705f, v8
	v_sub_f32_e32 v9, v9, v11
	v_add_f32_e32 v9, v9, v10
	v_exp_f32_e32 v9, v9
	v_cvt_i32_f32_e32 v10, v11
	s_mov_b32 s8, 0xc2ce8ed0
	v_cmp_ngt_f32_e32 vcc, s8, v8
	s_mov_b32 s8, 0x42b17218
	v_ldexp_f32 v9, v9, v10
	v_cndmask_b32_e32 v9, 0, v9, vcc
	v_mov_b32_e32 v10, 0x7f800000
	v_cmp_nlt_f32_e32 vcc, s8, v8
	v_cndmask_b32_e32 v8, v10, v9, vcc
	s_waitcnt lgkmcnt(0)
	v_mul_f32_e32 v4, v8, v4
                                        ; implicit-def: $vgpr8
.LBB4_24:
	s_andn2_saveexec_b64 s[2:3], s[2:3]
	s_cbranch_execz .LBB4_26
; %bb.25:
	v_sub_f32_e32 v6, v6, v8
	s_mov_b32 s8, 0x3fb8aa3b
	v_mul_f32_e32 v9, 0x3fb8aa3b, v6
	v_fma_f32 v10, v6, s8, -v9
	v_rndne_f32_e32 v11, v9
	v_fmac_f32_e32 v10, 0x32a5705f, v6
	v_sub_f32_e32 v9, v9, v11
	v_add_f32_e32 v9, v9, v10
	v_exp_f32_e32 v9, v9
	v_cvt_i32_f32_e32 v10, v11
	s_mov_b32 s8, 0xc2ce8ed0
	v_cmp_ngt_f32_e32 vcc, s8, v6
	s_mov_b32 s8, 0x42b17218
	v_ldexp_f32 v9, v9, v10
	v_cndmask_b32_e32 v9, 0, v9, vcc
	v_mov_b32_e32 v10, 0x7f800000
	v_cmp_nlt_f32_e32 vcc, s8, v6
	v_cndmask_b32_e32 v6, v10, v9, vcc
	v_mul_f32_e32 v7, v7, v6
	v_mov_b32_e32 v6, v8
.LBB4_26:
	s_or_b64 exec, exec, s[2:3]
	v_lshlrev_b32_e32 v3, 2, v3
	s_waitcnt lgkmcnt(0)
	v_add_f32_e32 v7, v7, v4
	v_and_b32_e32 v3, 0x100, v3
	ds_bpermute_b32 v4, v3, v6
	ds_bpermute_b32 v6, v3, v7
	s_and_b64 exec, exec, s[0:1]
	s_cbranch_execz .LBB4_29
; %bb.27:
	v_and_b32_e32 v0, 31, v0
	v_lshlrev_b32_e32 v0, 2, v0
	v_add_co_u32_e32 v3, vcc, v1, v0
	v_addc_co_u32_e32 v7, vcc, 0, v2, vcc
	v_mov_b32_e32 v1, s5
	v_add_co_u32_e32 v0, vcc, s4, v3
	v_addc_co_u32_e32 v1, vcc, v1, v7, vcc
	v_mov_b32_e32 v8, s7
	v_add_co_u32_e32 v2, vcc, s6, v3
	v_addc_co_u32_e32 v3, vcc, v8, v7, vcc
	s_mov_b64 s[0:1], 0
	s_mov_b32 s2, 0x3fb8aa3b
	s_mov_b32 s3, 0xc2ce8ed0
	;; [unrolled: 1-line block ×3, first 2 shown]
	v_mov_b32_e32 v7, 0x7f800000
.LBB4_28:                               ; =>This Inner Loop Header: Depth=1
	global_load_dword v8, v[2:3], off
	v_add_u32_e32 v5, 32, v5
	s_waitcnt vmcnt(0) lgkmcnt(1)
	v_sub_f32_e32 v8, v8, v4
	v_mul_f32_e32 v9, 0x3fb8aa3b, v8
	v_fma_f32 v10, v8, s2, -v9
	v_rndne_f32_e32 v11, v9
	v_fmac_f32_e32 v10, 0x32a5705f, v8
	v_sub_f32_e32 v9, v9, v11
	v_add_f32_e32 v9, v9, v10
	v_cvt_i32_f32_e32 v11, v11
	v_exp_f32_e32 v9, v9
	v_cmp_ngt_f32_e32 vcc, s3, v8
	v_ldexp_f32 v9, v9, v11
	v_cndmask_b32_e32 v9, 0, v9, vcc
	v_cmp_nlt_f32_e32 vcc, s4, v8
	v_cndmask_b32_e32 v8, v7, v9, vcc
	s_waitcnt lgkmcnt(0)
	v_div_scale_f32 v9, s[6:7], v6, v6, v8
	v_div_scale_f32 v10, vcc, v8, v6, v8
	v_rcp_f32_e32 v11, v9
	v_fma_f32 v12, -v9, v11, 1.0
	v_fmac_f32_e32 v11, v12, v11
	v_mul_f32_e32 v12, v10, v11
	v_fma_f32 v13, -v9, v12, v10
	v_fmac_f32_e32 v12, v13, v11
	v_fma_f32 v9, -v9, v12, v10
	v_div_fmas_f32 v9, v9, v11, v12
	v_cmp_le_i32_e32 vcc, s9, v5
	s_or_b64 s[0:1], vcc, s[0:1]
	v_div_fixup_f32 v8, v9, v6, v8
	global_store_dword v[0:1], v8, off
	v_add_co_u32_e32 v0, vcc, 0x80, v0
	v_addc_co_u32_e32 v1, vcc, 0, v1, vcc
	v_add_co_u32_e32 v2, vcc, 0x80, v2
	v_addc_co_u32_e32 v3, vcc, 0, v3, vcc
	s_andn2_b64 exec, exec, s[0:1]
	s_cbranch_execnz .LBB4_28
.LBB4_29:
	s_endpgm
	.section	.rodata,"a",@progbits
	.p2align	6, 0x0
	.amdhsa_kernel _Z30softmax_forward_online_kernel2ILj32EEvPfPKfii
		.amdhsa_group_segment_fixed_size 0
		.amdhsa_private_segment_fixed_size 0
		.amdhsa_kernarg_size 280
		.amdhsa_user_sgpr_count 6
		.amdhsa_user_sgpr_private_segment_buffer 1
		.amdhsa_user_sgpr_dispatch_ptr 0
		.amdhsa_user_sgpr_queue_ptr 0
		.amdhsa_user_sgpr_kernarg_segment_ptr 1
		.amdhsa_user_sgpr_dispatch_id 0
		.amdhsa_user_sgpr_flat_scratch_init 0
		.amdhsa_user_sgpr_private_segment_size 0
		.amdhsa_uses_dynamic_stack 0
		.amdhsa_system_sgpr_private_segment_wavefront_offset 0
		.amdhsa_system_sgpr_workgroup_id_x 1
		.amdhsa_system_sgpr_workgroup_id_y 0
		.amdhsa_system_sgpr_workgroup_id_z 0
		.amdhsa_system_sgpr_workgroup_info 0
		.amdhsa_system_vgpr_workitem_id 0
		.amdhsa_next_free_vgpr 18
		.amdhsa_next_free_sgpr 16
		.amdhsa_reserve_vcc 1
		.amdhsa_reserve_flat_scratch 0
		.amdhsa_float_round_mode_32 0
		.amdhsa_float_round_mode_16_64 0
		.amdhsa_float_denorm_mode_32 3
		.amdhsa_float_denorm_mode_16_64 3
		.amdhsa_dx10_clamp 1
		.amdhsa_ieee_mode 1
		.amdhsa_fp16_overflow 0
		.amdhsa_exception_fp_ieee_invalid_op 0
		.amdhsa_exception_fp_denorm_src 0
		.amdhsa_exception_fp_ieee_div_zero 0
		.amdhsa_exception_fp_ieee_overflow 0
		.amdhsa_exception_fp_ieee_underflow 0
		.amdhsa_exception_fp_ieee_inexact 0
		.amdhsa_exception_int_div_zero 0
	.end_amdhsa_kernel
	.section	.text._Z30softmax_forward_online_kernel2ILj32EEvPfPKfii,"axG",@progbits,_Z30softmax_forward_online_kernel2ILj32EEvPfPKfii,comdat
.Lfunc_end4:
	.size	_Z30softmax_forward_online_kernel2ILj32EEvPfPKfii, .Lfunc_end4-_Z30softmax_forward_online_kernel2ILj32EEvPfPKfii
                                        ; -- End function
	.set _Z30softmax_forward_online_kernel2ILj32EEvPfPKfii.num_vgpr, 18
	.set _Z30softmax_forward_online_kernel2ILj32EEvPfPKfii.num_agpr, 0
	.set _Z30softmax_forward_online_kernel2ILj32EEvPfPKfii.numbered_sgpr, 16
	.set _Z30softmax_forward_online_kernel2ILj32EEvPfPKfii.num_named_barrier, 0
	.set _Z30softmax_forward_online_kernel2ILj32EEvPfPKfii.private_seg_size, 0
	.set _Z30softmax_forward_online_kernel2ILj32EEvPfPKfii.uses_vcc, 1
	.set _Z30softmax_forward_online_kernel2ILj32EEvPfPKfii.uses_flat_scratch, 0
	.set _Z30softmax_forward_online_kernel2ILj32EEvPfPKfii.has_dyn_sized_stack, 0
	.set _Z30softmax_forward_online_kernel2ILj32EEvPfPKfii.has_recursion, 0
	.set _Z30softmax_forward_online_kernel2ILj32EEvPfPKfii.has_indirect_call, 0
	.section	.AMDGPU.csdata,"",@progbits
; Kernel info:
; codeLenInByte = 2280
; TotalNumSgprs: 20
; NumVgprs: 18
; ScratchSize: 0
; MemoryBound: 0
; FloatMode: 240
; IeeeMode: 1
; LDSByteSize: 0 bytes/workgroup (compile time only)
; SGPRBlocks: 2
; VGPRBlocks: 4
; NumSGPRsForWavesPerEU: 20
; NumVGPRsForWavesPerEU: 18
; Occupancy: 10
; WaveLimiterHint : 0
; COMPUTE_PGM_RSRC2:SCRATCH_EN: 0
; COMPUTE_PGM_RSRC2:USER_SGPR: 6
; COMPUTE_PGM_RSRC2:TRAP_HANDLER: 0
; COMPUTE_PGM_RSRC2:TGID_X_EN: 1
; COMPUTE_PGM_RSRC2:TGID_Y_EN: 0
; COMPUTE_PGM_RSRC2:TGID_Z_EN: 0
; COMPUTE_PGM_RSRC2:TIDIG_COMP_CNT: 0
	.section	.AMDGPU.gpr_maximums,"",@progbits
	.set amdgpu.max_num_vgpr, 0
	.set amdgpu.max_num_agpr, 0
	.set amdgpu.max_num_sgpr, 0
	.section	.AMDGPU.csdata,"",@progbits
	.type	__hip_cuid_52c0fc8bbf3b4e98,@object ; @__hip_cuid_52c0fc8bbf3b4e98
	.section	.bss,"aw",@nobits
	.globl	__hip_cuid_52c0fc8bbf3b4e98
__hip_cuid_52c0fc8bbf3b4e98:
	.byte	0                               ; 0x0
	.size	__hip_cuid_52c0fc8bbf3b4e98, 1

	.ident	"AMD clang version 22.0.0git (https://github.com/RadeonOpenCompute/llvm-project roc-7.2.4 26084 f58b06dce1f9c15707c5f808fd002e18c2accf7e)"
	.section	".note.GNU-stack","",@progbits
	.addrsig
	.addrsig_sym __hip_cuid_52c0fc8bbf3b4e98
	.amdgpu_metadata
---
amdhsa.kernels:
  - .args:
      - .actual_access:  write_only
        .address_space:  global
        .offset:         0
        .size:           8
        .value_kind:     global_buffer
      - .actual_access:  read_only
        .address_space:  global
        .offset:         8
        .size:           8
        .value_kind:     global_buffer
      - .offset:         16
        .size:           4
        .value_kind:     by_value
      - .offset:         20
        .size:           4
        .value_kind:     by_value
      - .offset:         24
        .size:           4
        .value_kind:     hidden_block_count_x
      - .offset:         28
        .size:           4
        .value_kind:     hidden_block_count_y
      - .offset:         32
        .size:           4
        .value_kind:     hidden_block_count_z
      - .offset:         36
        .size:           2
        .value_kind:     hidden_group_size_x
      - .offset:         38
        .size:           2
        .value_kind:     hidden_group_size_y
      - .offset:         40
        .size:           2
        .value_kind:     hidden_group_size_z
      - .offset:         42
        .size:           2
        .value_kind:     hidden_remainder_x
      - .offset:         44
        .size:           2
        .value_kind:     hidden_remainder_y
      - .offset:         46
        .size:           2
        .value_kind:     hidden_remainder_z
      - .offset:         64
        .size:           8
        .value_kind:     hidden_global_offset_x
      - .offset:         72
        .size:           8
        .value_kind:     hidden_global_offset_y
      - .offset:         80
        .size:           8
        .value_kind:     hidden_global_offset_z
      - .offset:         88
        .size:           2
        .value_kind:     hidden_grid_dims
    .group_segment_fixed_size: 4096
    .kernarg_segment_align: 8
    .kernarg_segment_size: 280
    .language:       OpenCL C
    .language_version:
      - 2
      - 0
    .max_flat_workgroup_size: 1024
    .name:           _Z30softmax_forward_online_kernel3PfPKfii
    .private_segment_fixed_size: 0
    .sgpr_count:     24
    .sgpr_spill_count: 0
    .symbol:         _Z30softmax_forward_online_kernel3PfPKfii.kd
    .uniform_work_group_size: 1
    .uses_dynamic_stack: false
    .vgpr_count:     15
    .vgpr_spill_count: 0
    .wavefront_size: 64
  - .args:
      - .address_space:  global
        .offset:         0
        .size:           8
        .value_kind:     global_buffer
      - .address_space:  global
        .offset:         8
        .size:           8
        .value_kind:     global_buffer
      - .offset:         16
        .size:           4
        .value_kind:     by_value
      - .offset:         20
        .size:           4
        .value_kind:     by_value
      - .offset:         24
        .size:           4
        .value_kind:     hidden_block_count_x
      - .offset:         28
        .size:           4
        .value_kind:     hidden_block_count_y
      - .offset:         32
        .size:           4
        .value_kind:     hidden_block_count_z
      - .offset:         36
        .size:           2
        .value_kind:     hidden_group_size_x
      - .offset:         38
        .size:           2
        .value_kind:     hidden_group_size_y
      - .offset:         40
        .size:           2
        .value_kind:     hidden_group_size_z
      - .offset:         42
        .size:           2
        .value_kind:     hidden_remainder_x
      - .offset:         44
        .size:           2
        .value_kind:     hidden_remainder_y
      - .offset:         46
        .size:           2
        .value_kind:     hidden_remainder_z
      - .offset:         64
        .size:           8
        .value_kind:     hidden_global_offset_x
      - .offset:         72
        .size:           8
        .value_kind:     hidden_global_offset_y
      - .offset:         80
        .size:           8
        .value_kind:     hidden_global_offset_z
      - .offset:         88
        .size:           2
        .value_kind:     hidden_grid_dims
    .group_segment_fixed_size: 0
    .kernarg_segment_align: 8
    .kernarg_segment_size: 280
    .language:       OpenCL C
    .language_version:
      - 2
      - 0
    .max_flat_workgroup_size: 1024
    .name:           _Z31softmax_forward_baseline_kernelILj64EEvPfPKfii
    .private_segment_fixed_size: 0
    .sgpr_count:     18
    .sgpr_spill_count: 0
    .symbol:         _Z31softmax_forward_baseline_kernelILj64EEvPfPKfii.kd
    .uniform_work_group_size: 1
    .uses_dynamic_stack: false
    .vgpr_count:     16
    .vgpr_spill_count: 0
    .wavefront_size: 64
  - .args:
      - .address_space:  global
        .offset:         0
        .size:           8
        .value_kind:     global_buffer
      - .address_space:  global
        .offset:         8
        .size:           8
        .value_kind:     global_buffer
      - .offset:         16
        .size:           4
        .value_kind:     by_value
      - .offset:         20
        .size:           4
        .value_kind:     by_value
      - .offset:         24
        .size:           4
        .value_kind:     hidden_block_count_x
      - .offset:         28
        .size:           4
        .value_kind:     hidden_block_count_y
      - .offset:         32
        .size:           4
        .value_kind:     hidden_block_count_z
      - .offset:         36
        .size:           2
        .value_kind:     hidden_group_size_x
      - .offset:         38
        .size:           2
        .value_kind:     hidden_group_size_y
      - .offset:         40
        .size:           2
        .value_kind:     hidden_group_size_z
      - .offset:         42
        .size:           2
        .value_kind:     hidden_remainder_x
      - .offset:         44
        .size:           2
        .value_kind:     hidden_remainder_y
      - .offset:         46
        .size:           2
        .value_kind:     hidden_remainder_z
      - .offset:         64
        .size:           8
        .value_kind:     hidden_global_offset_x
      - .offset:         72
        .size:           8
        .value_kind:     hidden_global_offset_y
      - .offset:         80
        .size:           8
        .value_kind:     hidden_global_offset_z
      - .offset:         88
        .size:           2
        .value_kind:     hidden_grid_dims
    .group_segment_fixed_size: 0
    .kernarg_segment_align: 8
    .kernarg_segment_size: 280
    .language:       OpenCL C
    .language_version:
      - 2
      - 0
    .max_flat_workgroup_size: 1024
    .name:           _Z31softmax_forward_baseline_kernelILj32EEvPfPKfii
    .private_segment_fixed_size: 0
    .sgpr_count:     18
    .sgpr_spill_count: 0
    .symbol:         _Z31softmax_forward_baseline_kernelILj32EEvPfPKfii.kd
    .uniform_work_group_size: 1
    .uses_dynamic_stack: false
    .vgpr_count:     16
    .vgpr_spill_count: 0
    .wavefront_size: 64
  - .args:
      - .address_space:  global
        .offset:         0
        .size:           8
        .value_kind:     global_buffer
      - .address_space:  global
        .offset:         8
        .size:           8
        .value_kind:     global_buffer
      - .offset:         16
        .size:           4
        .value_kind:     by_value
      - .offset:         20
        .size:           4
        .value_kind:     by_value
      - .offset:         24
        .size:           4
        .value_kind:     hidden_block_count_x
      - .offset:         28
        .size:           4
        .value_kind:     hidden_block_count_y
      - .offset:         32
        .size:           4
        .value_kind:     hidden_block_count_z
      - .offset:         36
        .size:           2
        .value_kind:     hidden_group_size_x
      - .offset:         38
        .size:           2
        .value_kind:     hidden_group_size_y
      - .offset:         40
        .size:           2
        .value_kind:     hidden_group_size_z
      - .offset:         42
        .size:           2
        .value_kind:     hidden_remainder_x
      - .offset:         44
        .size:           2
        .value_kind:     hidden_remainder_y
      - .offset:         46
        .size:           2
        .value_kind:     hidden_remainder_z
      - .offset:         64
        .size:           8
        .value_kind:     hidden_global_offset_x
      - .offset:         72
        .size:           8
        .value_kind:     hidden_global_offset_y
      - .offset:         80
        .size:           8
        .value_kind:     hidden_global_offset_z
      - .offset:         88
        .size:           2
        .value_kind:     hidden_grid_dims
    .group_segment_fixed_size: 0
    .kernarg_segment_align: 8
    .kernarg_segment_size: 280
    .language:       OpenCL C
    .language_version:
      - 2
      - 0
    .max_flat_workgroup_size: 1024
    .name:           _Z30softmax_forward_online_kernel2ILj64EEvPfPKfii
    .private_segment_fixed_size: 0
    .sgpr_count:     20
    .sgpr_spill_count: 0
    .symbol:         _Z30softmax_forward_online_kernel2ILj64EEvPfPKfii.kd
    .uniform_work_group_size: 1
    .uses_dynamic_stack: false
    .vgpr_count:     18
    .vgpr_spill_count: 0
    .wavefront_size: 64
  - .args:
      - .address_space:  global
        .offset:         0
        .size:           8
        .value_kind:     global_buffer
      - .address_space:  global
        .offset:         8
        .size:           8
        .value_kind:     global_buffer
      - .offset:         16
        .size:           4
        .value_kind:     by_value
      - .offset:         20
        .size:           4
        .value_kind:     by_value
      - .offset:         24
        .size:           4
        .value_kind:     hidden_block_count_x
      - .offset:         28
        .size:           4
        .value_kind:     hidden_block_count_y
      - .offset:         32
        .size:           4
        .value_kind:     hidden_block_count_z
      - .offset:         36
        .size:           2
        .value_kind:     hidden_group_size_x
      - .offset:         38
        .size:           2
        .value_kind:     hidden_group_size_y
      - .offset:         40
        .size:           2
        .value_kind:     hidden_group_size_z
      - .offset:         42
        .size:           2
        .value_kind:     hidden_remainder_x
      - .offset:         44
        .size:           2
        .value_kind:     hidden_remainder_y
      - .offset:         46
        .size:           2
        .value_kind:     hidden_remainder_z
      - .offset:         64
        .size:           8
        .value_kind:     hidden_global_offset_x
      - .offset:         72
        .size:           8
        .value_kind:     hidden_global_offset_y
      - .offset:         80
        .size:           8
        .value_kind:     hidden_global_offset_z
      - .offset:         88
        .size:           2
        .value_kind:     hidden_grid_dims
    .group_segment_fixed_size: 0
    .kernarg_segment_align: 8
    .kernarg_segment_size: 280
    .language:       OpenCL C
    .language_version:
      - 2
      - 0
    .max_flat_workgroup_size: 1024
    .name:           _Z30softmax_forward_online_kernel2ILj32EEvPfPKfii
    .private_segment_fixed_size: 0
    .sgpr_count:     20
    .sgpr_spill_count: 0
    .symbol:         _Z30softmax_forward_online_kernel2ILj32EEvPfPKfii.kd
    .uniform_work_group_size: 1
    .uses_dynamic_stack: false
    .vgpr_count:     18
    .vgpr_spill_count: 0
    .wavefront_size: 64
amdhsa.target:   amdgcn-amd-amdhsa--gfx906
amdhsa.version:
  - 1
  - 2
...

	.end_amdgpu_metadata
